;; amdgpu-corpus repo=ggml-org/llama.cpp kind=compiled arch=gfx90a opt=O3
	.text
	.amdgcn_target "amdgcn-amd-amdhsa--gfx90a"
	.amdhsa_code_object_version 6
	.section	.text._ZL15flash_attn_tileILi320ELi256ELi1ELi32ELb0EEvPKcS1_S1_S1_S1_PKiPfP15HIP_vector_typeIfLj2EEffffjfiS5_IjLj3EEiiiiiiiiiiiliiliiiiil,"axG",@progbits,_ZL15flash_attn_tileILi320ELi256ELi1ELi32ELb0EEvPKcS1_S1_S1_S1_PKiPfP15HIP_vector_typeIfLj2EEffffjfiS5_IjLj3EEiiiiiiiiiiiliiliiiiil,comdat
	.globl	_ZL15flash_attn_tileILi320ELi256ELi1ELi32ELb0EEvPKcS1_S1_S1_S1_PKiPfP15HIP_vector_typeIfLj2EEffffjfiS5_IjLj3EEiiiiiiiiiiiliiliiiiil ; -- Begin function _ZL15flash_attn_tileILi320ELi256ELi1ELi32ELb0EEvPKcS1_S1_S1_S1_PKiPfP15HIP_vector_typeIfLj2EEffffjfiS5_IjLj3EEiiiiiiiiiiiliiliiiiil
	.p2align	8
	.type	_ZL15flash_attn_tileILi320ELi256ELi1ELi32ELb0EEvPKcS1_S1_S1_S1_PKiPfP15HIP_vector_typeIfLj2EEffffjfiS5_IjLj3EEiiiiiiiiiiiliiliiiiil,@function
_ZL15flash_attn_tileILi320ELi256ELi1ELi32ELb0EEvPKcS1_S1_S1_S1_PKiPfP15HIP_vector_typeIfLj2EEffffjfiS5_IjLj3EEiiiiiiiiiiiliiliiiiil: ; @_ZL15flash_attn_tileILi320ELi256ELi1ELi32ELb0EEvPKcS1_S1_S1_S1_PKiPfP15HIP_vector_typeIfLj2EEffffjfiS5_IjLj3EEiiiiiiiiiiiliiliiiiil
; %bb.0:
	s_load_dwordx4 s[36:39], s[4:5], 0x5c
	s_load_dwordx2 s[34:35], s[4:5], 0x80
	s_load_dwordx16 s[16:31], s[4:5], 0x0
	s_mov_b64 s[40:41], 0
	s_waitcnt lgkmcnt(0)
	s_ashr_i32 s0, s39, 31
	s_lshr_b32 s0, s0, 27
	s_add_i32 s0, s39, s0
	s_ashr_i32 s0, s0, 5
	v_cvt_f32_u32_e32 v1, s0
	s_sub_i32 s1, 0, s0
	v_rcp_iflag_f32_e32 v1, v1
	v_mul_f32_e32 v1, 0x4f7ffffe, v1
	v_cvt_u32_f32_e32 v1, v1
	v_readfirstlane_b32 s2, v1
	s_mul_i32 s1, s1, s2
	s_mul_hi_u32 s1, s2, s1
	s_add_i32 s2, s2, s1
	s_mul_hi_u32 s1, s8, s2
	s_mul_i32 s2, s1, s0
	s_sub_i32 s2, s8, s2
	s_add_i32 s3, s1, 1
	s_sub_i32 s9, s2, s0
	s_cmp_ge_u32 s2, s0
	s_cselect_b32 s1, s3, s1
	s_cselect_b32 s2, s9, s2
	s_add_i32 s3, s1, 1
	s_cmp_ge_u32 s2, s0
	s_cselect_b32 s33, s3, s1
	s_abs_i32 s0, s35
	v_cvt_f32_u32_e32 v1, s0
	s_lshl_b32 s1, s8, 5
	s_mul_i32 s8, s33, s39
	s_xor_b32 s2, s39, s35
	v_rcp_iflag_f32_e32 v1, v1
	s_sub_i32 s9, 0, s0
	s_sub_i32 s35, s1, s8
	s_abs_i32 s3, s39
	v_mul_f32_e32 v1, 0x4f7ffffe, v1
	v_cvt_u32_f32_e32 v1, v1
	s_ashr_i32 s2, s2, 31
	v_readfirstlane_b32 s1, v1
	s_mul_i32 s9, s9, s1
	s_mul_hi_u32 s8, s1, s9
	s_add_i32 s1, s1, s8
	s_mul_hi_u32 s1, s3, s1
	s_mul_i32 s8, s1, s0
	s_sub_i32 s3, s3, s8
	s_add_i32 s9, s1, 1
	s_sub_i32 s8, s3, s0
	s_cmp_ge_u32 s3, s0
	s_cselect_b32 s1, s9, s1
	s_cselect_b32 s3, s8, s3
	s_add_i32 s8, s1, 1
	s_cmp_ge_u32 s3, s0
	s_cselect_b32 s0, s8, s1
	s_xor_b32 s0, s0, s2
	s_sub_i32 s13, s0, s2
	s_abs_i32 s12, s13
	v_cvt_f32_u32_e32 v1, s12
	s_load_dwordx2 s[8:9], s[4:5], 0xb8
	s_cmp_eq_u64 s[22:23], 0
	v_rcp_iflag_f32_e32 v1, v1
	v_mul_f32_e32 v1, 0x4f7ffffe, v1
	v_cvt_u32_f32_e32 v1, v1
	v_readfirstlane_b32 s14, v1
	s_cbranch_scc1 .LBB0_2
; %bb.1:
	s_waitcnt lgkmcnt(0)
	s_abs_i32 s2, s8
	v_cvt_f32_u32_e32 v1, s2
	s_sub_i32 s10, 0, s2
	s_abs_i32 s8, s33
	s_ashr_i32 s3, s33, 31
	v_rcp_iflag_f32_e32 v1, v1
	s_load_dwordx2 s[0:1], s[4:5], 0xc8
	v_mul_f32_e32 v1, 0x4f7ffffe, v1
	v_cvt_u32_f32_e32 v1, v1
	v_readfirstlane_b32 s11, v1
	s_mul_i32 s10, s10, s11
	s_mul_hi_u32 s10, s11, s10
	s_add_i32 s11, s11, s10
	s_mul_hi_u32 s10, s8, s11
	s_mul_i32 s10, s10, s2
	s_sub_i32 s8, s8, s10
	s_sub_i32 s10, s8, s2
	s_cmp_ge_u32 s8, s2
	s_cselect_b32 s8, s10, s8
	s_sub_i32 s10, s8, s2
	s_cmp_ge_u32 s8, s2
	s_cselect_b32 s2, s10, s8
	s_xor_b32 s2, s2, s3
	s_sub_i32 s2, s2, s3
	s_ashr_i32 s3, s2, 31
	s_waitcnt lgkmcnt(0)
	s_mul_i32 s1, s2, s1
	s_mul_hi_u32 s8, s2, s0
	s_add_i32 s1, s8, s1
	s_mul_i32 s3, s3, s0
	s_add_i32 s1, s1, s3
	s_mul_i32 s2, s2, s0
	s_add_u32 s40, s22, s2
	s_addc_u32 s41, s23, s1
.LBB0_2:
	s_load_dwordx4 s[0:3], s[4:5], 0x70
	v_bfe_u32 v2, v0, 10, 10
	v_lshrrev_b32_e32 v1, 4, v2
	v_add_u32_e32 v21, s6, v1
	v_and_b32_e32 v20, 0x3ff, v0
	s_waitcnt lgkmcnt(0)
	s_mul_i32 s2, s33, s2
	s_ashr_i32 s8, s2, 31
	v_mul_hi_u32 v0, s36, v21
	s_mul_i32 s3, s35, s1
	s_add_u32 s2, s16, s2
	v_add_u32_e32 v0, v21, v0
	s_addc_u32 s8, s17, s8
	s_ashr_i32 s10, s3, 31
	v_lshrrev_b32_e32 v0, s37, v0
	s_add_u32 s15, s2, s3
	v_mul_lo_u32 v0, v0, s38
	s_addc_u32 s8, s8, s10
	v_sub_u32_e32 v3, v21, v0
	s_ashr_i32 s10, s0, 31
	v_mov_b32_e32 v0, s0
	v_alignbit_b32 v0, s10, v0, 2
	v_mad_u64_u32 v[0:1], s[2:3], v0, v3, 0
	v_mov_b32_e32 v6, v1
	s_lshr_b32 s0, s10, 2
	v_mad_u64_u32 v[6:7], s[2:3], s0, v3, v[6:7]
	v_mov_b32_e32 v1, v6
	v_lshlrev_b64 v[0:1], 2, v[0:1]
	v_mov_b32_e32 v5, s8
	v_add_co_u32_e32 v0, vcc, s15, v0
	v_addc_co_u32_e32 v1, vcc, v5, v1, vcc
	v_lshlrev_b32_e32 v5, 4, v20
	v_lshlrev_b32_e32 v4, 1, v2
	s_ashr_i32 s11, s1, 31
	v_add_co_u32_e32 v5, vcc, v0, v5
	v_mov_b32_e32 v0, s1
	v_and_b32_e32 v53, 30, v4
	v_alignbit_b32 v0, s11, v0, 2
	v_addc_co_u32_e32 v6, vcc, 0, v1, vcc
	v_mad_u64_u32 v[0:1], s[2:3], v0, v53, 0
	v_mov_b32_e32 v8, v1
	s_lshr_b32 s0, s11, 2
	v_mad_u64_u32 v[8:9], s[2:3], s0, v53, v[8:9]
	v_mov_b32_e32 v1, v8
	v_lshlrev_b64 v[0:1], 2, v[0:1]
	v_add_co_u32_e32 v0, vcc, v5, v0
	v_addc_co_u32_e32 v1, vcc, v6, v1, vcc
	global_load_dwordx4 v[10:13], v[0:1], off
	global_load_dwordx4 v[14:17], v[0:1], off offset:512
	s_load_dword s2, s[4:5], 0x40
	v_lshlrev_b32_e32 v7, 1, v20
	v_mul_u32_u24_e32 v8, 0x140, v2
	s_mov_b32 s10, s1
	v_add_lshl_u32 v8, v8, v7, 2
	s_waitcnt lgkmcnt(0)
	s_mov_b32 s3, s2
	s_lshr_b64 s[0:1], s[10:11], 2
	v_cmp_gt_u32_e32 vcc, 16, v20
	s_waitcnt vmcnt(1)
	v_pk_mul_f32 v[10:11], v[10:11], s[2:3] op_sel_hi:[1,0]
	v_pk_mul_f32 v[12:13], v[12:13], s[2:3] op_sel_hi:[1,0]
	s_waitcnt vmcnt(0)
	v_pk_mul_f32 v[14:15], v[14:15], s[2:3] op_sel_hi:[1,0]
	v_pk_mul_f32 v[16:17], v[16:17], s[2:3] op_sel_hi:[1,0]
	v_cvt_f16_f32_e32 v9, v11
	v_cvt_f16_f32_e32 v10, v10
	;; [unrolled: 1-line block ×8, first 2 shown]
	v_pack_b32_f16 v11, v12, v11
	v_pack_b32_f16 v10, v10, v9
	v_pack_b32_f16 v13, v16, v13
	v_pack_b32_f16 v12, v14, v15
	ds_write2_b64 v8, v[10:11], v[12:13] offset1:32
	s_and_saveexec_b64 s[10:11], vcc
	s_cbranch_execz .LBB0_4
; %bb.3:
	global_load_dwordx4 v[10:13], v[0:1], off offset:1024
	s_waitcnt vmcnt(0)
	v_pk_mul_f32 v[0:1], v[10:11], s[2:3]
	v_pk_mul_f32 v[10:11], v[12:13], s[2:3]
	v_cvt_f16_f32_e32 v1, v1
	v_cvt_f16_f32_e32 v0, v0
	;; [unrolled: 1-line block ×4, first 2 shown]
	v_pack_b32_f16 v0, v0, v1
	v_pack_b32_f16 v1, v10, v9
	ds_write_b64 v8, v[0:1] offset:512
.LBB0_4:
	s_or_b64 exec, exec, s[10:11]
	v_or_b32_e32 v16, 1, v4
	v_and_b32_e32 v8, 31, v16
	v_mad_u64_u32 v[0:1], s[10:11], s0, v8, 0
	v_mov_b32_e32 v4, v1
	v_mad_u64_u32 v[8:9], s[0:1], s1, v8, v[4:5]
	v_mov_b32_e32 v1, v8
	v_lshlrev_b64 v[0:1], 2, v[0:1]
	v_add_co_u32_e64 v0, s[0:1], v5, v0
	v_addc_co_u32_e64 v1, s[0:1], v6, v1, s[0:1]
	global_load_dwordx4 v[8:11], v[0:1], off
	global_load_dwordx4 v[12:15], v[0:1], off offset:512
	v_mul_u32_u24_e32 v4, 0xa0, v16
	v_add_lshl_u32 v4, v4, v7, 2
	s_waitcnt vmcnt(1)
	v_pk_mul_f32 v[6:7], v[8:9], s[2:3]
	v_pk_mul_f32 v[8:9], v[10:11], s[2:3]
	s_waitcnt vmcnt(0)
	v_pk_mul_f32 v[10:11], v[12:13], s[2:3]
	v_pk_mul_f32 v[12:13], v[14:15], s[2:3]
	v_cvt_f16_f32_e32 v5, v7
	v_cvt_f16_f32_e32 v6, v6
	;; [unrolled: 1-line block ×8, first 2 shown]
	v_pack_b32_f16 v7, v8, v7
	v_pack_b32_f16 v6, v6, v5
	;; [unrolled: 1-line block ×4, first 2 shown]
	ds_write2_b64 v4, v[6:7], v[8:9] offset1:32
	s_and_saveexec_b64 s[0:1], vcc
	s_cbranch_execz .LBB0_6
; %bb.5:
	global_load_dwordx4 v[6:9], v[0:1], off offset:1024
	s_waitcnt vmcnt(0)
	v_pk_mul_f32 v[0:1], v[6:7], s[2:3]
	v_pk_mul_f32 v[6:7], v[8:9], s[2:3]
	v_cvt_f16_f32_e32 v1, v1
	v_cvt_f16_f32_e32 v0, v0
	;; [unrolled: 1-line block ×4, first 2 shown]
	v_pack_b32_f16 v0, v0, v1
	v_pack_b32_f16 v1, v6, v5
	ds_write_b64 v4, v[0:1] offset:512
.LBB0_6:
	s_or_b64 exec, exec, s[0:1]
	s_cmp_eq_u64 s[26:27], 0
	s_waitcnt lgkmcnt(0)
	s_barrier
	s_cbranch_scc1 .LBB0_8
; %bb.7:
	s_load_dword s0, s[4:5], 0xd0
	s_mov_b32 s1, 0
	s_waitcnt lgkmcnt(0)
	s_mul_i32 s0, s0, s33
	s_add_i32 s0, s0, s6
	s_lshl_b64 s[0:1], s[0:1], 2
	s_add_u32 s0, s26, s0
	s_addc_u32 s1, s27, s1
	s_load_dword s34, s[0:1], 0x0
.LBB0_8:
	s_lshl_b32 s26, s7, 7
	v_lshlrev_b32_e32 v52, 2, v20
	s_waitcnt lgkmcnt(0)
	s_cmp_lt_i32 s26, s34
	v_mbcnt_lo_u32_b32 v0, -1, 0
	s_cbranch_scc1 .LBB0_10
; %bb.9:
	v_mbcnt_hi_u32_b32 v25, -1, v0
	v_and_b32_e32 v1, 0x60, v25
	s_mov_b32 s0, 0xfeffffff
	s_mov_b32 s6, 0
	v_add_u32_e32 v54, 32, v1
	v_xor_b32_e32 v59, 16, v25
	v_xor_b32_e32 v58, 8, v25
	;; [unrolled: 1-line block ×5, first 2 shown]
	s_mov_b32 s1, s0
	s_mov_b64 s[2:3], 0
	s_branch .LBB0_11
.LBB0_10:
	s_mov_b64 s[2:3], -1
                                        ; implicit-def: $sgpr6
                                        ; implicit-def: $sgpr0_sgpr1
                                        ; implicit-def: $vgpr25
                                        ; implicit-def: $vgpr54
                                        ; implicit-def: $vgpr59
                                        ; implicit-def: $vgpr58
                                        ; implicit-def: $vgpr57
                                        ; implicit-def: $vgpr56
                                        ; implicit-def: $vgpr55
.LBB0_11:
	s_andn2_b64 vcc, exec, s[2:3]
	v_mov_b32_e32 v23, s6
	v_pk_mov_b32 v[48:49], s[0:1], s[0:1] op_sel:[0,1]
	v_mov_b32_e32 v85, s6
	v_mov_b32_e32 v22, s6
	;; [unrolled: 1-line block ×9, first 2 shown]
	s_cbranch_vccnz .LBB0_14
; %bb.12:
	s_sub_i32 s0, 0, s12
	s_mul_i32 s0, s0, s14
	s_mul_hi_u32 s0, s14, s0
	s_add_i32 s14, s14, s0
	s_load_dwordx2 s[10:11], s[4:5], 0x8c
	s_load_dwordx4 s[0:3], s[4:5], 0x98
	s_abs_i32 s6, s35
	s_ashr_i32 s16, s35, 31
	s_ashr_i32 s13, s13, 31
	s_waitcnt lgkmcnt(0)
	s_ashr_i32 s36, s10, 2
	s_ashr_i32 s27, s2, 2
	;; [unrolled: 1-line block ×4, first 2 shown]
	s_mul_i32 s1, s33, s1
	s_mul_hi_u32 s10, s33, s0
	s_add_i32 s1, s10, s1
	s_mul_i32 s10, s9, s0
	s_add_i32 s1, s1, s10
	s_mul_i32 s0, s33, s0
	s_mul_hi_u32 s8, s6, s14
	s_add_u32 s0, s18, s0
	s_addc_u32 s1, s19, s1
	s_xor_b32 s10, s16, s13
	s_mul_i32 s13, s8, s12
	s_sub_i32 s6, s6, s13
	s_add_i32 s13, s8, 1
	s_sub_i32 s16, s6, s12
	s_cmp_ge_u32 s6, s12
	s_cselect_b32 s8, s13, s8
	s_cselect_b32 s6, s16, s6
	s_add_i32 s13, s8, 1
	s_cmp_ge_u32 s6, s12
	s_cselect_b32 s6, s13, s8
	s_load_dwordx2 s[14:15], s[4:5], 0xa8
	s_xor_b32 s6, s6, s10
	s_sub_i32 s6, s6, s10
	s_mul_i32 s8, s6, s11
	s_ashr_i32 s10, s8, 31
	s_add_u32 s37, s0, s8
	s_addc_u32 s42, s1, s10
	s_waitcnt lgkmcnt(0)
	s_mul_i32 s0, s33, s15
	s_mul_hi_u32 s1, s33, s14
	s_add_i32 s0, s1, s0
	s_mul_i32 s9, s9, s14
	s_add_i32 s0, s0, s9
	s_mul_i32 s1, s33, s14
	s_add_u32 s1, s20, s1
	s_mul_i32 s6, s6, s3
	s_addc_u32 s0, s21, s0
	s_ashr_i32 s3, s6, 31
	s_add_u32 s43, s1, s6
	v_lshrrev_b32_e32 v1, 3, v20
	v_and_b32_e32 v4, 28, v52
	s_addc_u32 s44, s0, s3
	v_lshl_add_u32 v1, v2, 2, v1
	v_lshlrev_b32_e32 v5, 2, v4
	s_movk_i32 s0, 0x90
	v_mad_u32_u24 v5, v1, s0, v5
	v_mul_lo_u32 v6, s36, v1
	v_lshlrev_b32_e32 v1, 9, v2
	v_mul_u32_u24_e32 v63, 0x500, v2
	v_mad_u64_u32 v[24:25], s[0:1], v3, s2, v[20:21]
	v_add_u32_e32 v64, 0x9800, v1
	v_lshl_add_u32 v1, v52, 2, v1
	v_mul_lo_u32 v2, s27, v2
	v_lshl_add_u32 v8, s36, 6, v6
	v_add_u32_e32 v65, 0x5000, v1
	v_add_u32_e32 v66, 0x7000, v1
	v_lshl_add_u32 v10, s27, 4, v2
	v_mov_b32_e32 v1, 0x5000
	v_mbcnt_hi_u32_b32 v25, -1, v0
	v_mov_b32_e32 v80, 0
	v_ashrrev_i32_e32 v7, 31, v6
	v_ashrrev_i32_e32 v9, 31, v8
	;; [unrolled: 1-line block ×4, first 2 shown]
	v_lshl_add_u32 v67, v20, 3, v1
	s_add_u32 s22, s4, 0xd0
	v_mov_b32_e32 v34, 0xfeffffff
	v_and_b32_e32 v0, 0x60, v25
	v_add_u32_e32 v60, 0x5000, v5
	v_add_u32_e32 v61, 0x7400, v5
	v_mul_u32_u24_e32 v62, 0x90, v20
	s_addc_u32 s23, s5, 0
	v_lshlrev_b64 v[26:27], 2, v[6:7]
	v_lshlrev_b32_e32 v68, 2, v4
	v_lshlrev_b64 v[28:29], 2, v[8:9]
	v_add_u32_e32 v54, 32, v0
	v_xor_b32_e32 v59, 16, v25
	v_xor_b32_e32 v58, 8, v25
	;; [unrolled: 1-line block ×5, first 2 shown]
	v_mov_b32_e32 v69, s41
	s_mov_b32 s6, 0x40051340
	s_mov_b32 s41, 0x3fb8aa3b
	;; [unrolled: 1-line block ×4, first 2 shown]
	v_mov_b32_e32 v70, 0x7f800000
	v_add_u32_e32 v71, v64, v52
	v_lshlrev_b64 v[30:31], 2, v[2:3]
	v_lshlrev_b32_e32 v72, 2, v52
	v_lshlrev_b64 v[32:33], 2, v[10:11]
	v_add_u32_e32 v73, 0x800, v67
	v_add_u32_e32 v74, 0x1000, v67
	;; [unrolled: 1-line block ×7, first 2 shown]
	v_mov_b32_e32 v82, 0
	v_mov_b32_e32 v83, 0
	;; [unrolled: 1-line block ×10, first 2 shown]
.LBB0_13:                               ; =>This Inner Loop Header: Depth=1
	v_cmp_lt_i32_e32 vcc, v59, v54
	v_cndmask_b32_e32 v1, v25, v59, vcc
	v_cmp_lt_i32_e32 vcc, v58, v54
	v_add_u32_e32 v0, s26, v24
	v_cndmask_b32_e32 v2, v25, v58, vcc
	v_cmp_lt_i32_e32 vcc, v57, v54
	s_mul_hi_i32 s1, s26, s36
	s_mul_i32 s0, s26, s36
	v_cndmask_b32_e32 v3, v25, v57, vcc
	v_cmp_lt_i32_e32 vcc, v56, v54
	v_lshlrev_b32_e32 v94, 2, v1
	v_ashrrev_i32_e32 v1, 31, v0
	v_cndmask_b32_e32 v4, v25, v56, vcc
	v_cmp_lt_i32_e32 vcc, v55, v54
	s_lshl_b64 s[0:1], s[0:1], 2
	v_lshlrev_b64 v[0:1], 1, v[0:1]
	v_cndmask_b32_e32 v5, v25, v55, vcc
	s_add_u32 s0, s37, s0
	v_add_co_u32_e32 v14, vcc, s40, v0
	s_addc_u32 s1, s42, s1
	v_addc_co_u32_e32 v15, vcc, v69, v1, vcc
	v_lshlrev_b32_e32 v93, 2, v2
	v_lshlrev_b32_e32 v92, 2, v3
	v_mov_b32_e32 v0, s1
	v_mov_b32_e32 v1, s1
	v_add_co_u32_e32 v2, vcc, s0, v28
	v_add_co_u32_e64 v3, s[0:1], s0, v26
	v_addc_co_u32_e64 v0, s[0:1], v0, v27, s[0:1]
	v_addc_co_u32_e32 v1, vcc, v1, v29, vcc
	v_add_co_u32_e64 v50, s[0:1], v3, v68
	v_add_co_u32_e32 v16, vcc, v2, v68
	v_addc_co_u32_e64 v51, s[0:1], 0, v0, s[0:1]
	v_lshlrev_b32_e32 v91, 2, v4
	v_lshlrev_b32_e32 v90, 2, v5
	v_addc_co_u32_e32 v17, vcc, 0, v1, vcc
	global_load_dwordx4 v[0:3], v[50:51], off
	global_load_dwordx4 v[4:7], v[16:17], off
	v_mov_b32_e32 v88, 0
	v_mov_b32_e32 v8, 0
	;; [unrolled: 1-line block ×8, first 2 shown]
	s_mul_hi_i32 s3, s26, s27
	s_mul_i32 s2, s26, s27
	s_lshl_b64 s[2:3], s[2:3], 2
	s_add_u32 s2, s43, s2
	s_addc_u32 s3, s44, s3
	v_mov_b32_e32 v18, s3
	v_add_co_u32_e32 v19, vcc, s2, v30
	v_mov_b32_e32 v36, s3
	v_add_co_u32_e64 v37, s[0:1], s2, v32
	v_addc_co_u32_e32 v38, vcc, v18, v31, vcc
	v_addc_co_u32_e64 v36, vcc, v36, v33, s[0:1]
	v_add_co_u32_e64 v48, s[0:1], v19, v72
	v_add_co_u32_e32 v18, vcc, v37, v72
	v_addc_co_u32_e64 v49, s[0:1], 0, v38, s[0:1]
	v_addc_co_u32_e32 v19, vcc, 0, v36, vcc
	s_or_b32 s8, s26, 32
	s_mul_hi_i32 s3, s8, s27
	s_mul_i32 s2, s8, s27
	s_lshl_b64 s[2:3], s[2:3], 2
	s_add_u32 s0, s43, s2
	s_addc_u32 s1, s44, s3
	v_mov_b32_e32 v36, s1
	v_mov_b32_e32 v37, s1
	v_add_co_u32_e32 v38, vcc, s0, v32
	v_add_co_u32_e64 v39, s[0:1], s0, v30
	s_or_b32 s2, s26, 64
	v_addc_co_u32_e64 v36, s[0:1], v36, v31, s[0:1]
	s_waitcnt vmcnt(1)
	ds_write_b128 v60, v[0:3]
	s_waitcnt vmcnt(0)
	ds_write_b128 v61, v[4:7]
	s_waitcnt lgkmcnt(0)
	s_barrier
	ds_read_b128 v[0:3], v62 offset:20480
	ds_read_b128 v[4:7], v63
	ds_read_b128 v[96:99], v62 offset:25088
	ds_read_b128 v[100:103], v62 offset:29696
	;; [unrolled: 1-line block ×4, first 2 shown]
	s_waitcnt lgkmcnt(4)
	;;#ASMSTART
	v_dot2_f32_f16 v88, v0, v4, v88
	;;#ASMEND
	;;#ASMSTART
	v_dot2_f32_f16 v88, v1, v5, v88
	;;#ASMEND
	;; [unrolled: 3-line block ×4, first 2 shown]
	s_waitcnt lgkmcnt(0)
	;;#ASMSTART
	v_dot2_f32_f16 v8, v0, v108, v8
	;;#ASMEND
	;;#ASMSTART
	v_dot2_f32_f16 v8, v1, v109, v8
	;;#ASMEND
	;; [unrolled: 3-line block ×28, first 2 shown]
	ds_read_b128 v[0:3], v62 offset:20496
	ds_read_b128 v[4:7], v63 offset:16
	;; [unrolled: 1-line block ×6, first 2 shown]
	s_waitcnt lgkmcnt(4)
	;;#ASMSTART
	v_dot2_f32_f16 v88, v0, v4, v88
	;;#ASMEND
	;;#ASMSTART
	v_dot2_f32_f16 v88, v1, v5, v88
	;;#ASMEND
	;; [unrolled: 3-line block ×4, first 2 shown]
	s_waitcnt lgkmcnt(0)
	;;#ASMSTART
	v_dot2_f32_f16 v8, v0, v108, v8
	;;#ASMEND
	;;#ASMSTART
	v_dot2_f32_f16 v8, v1, v109, v8
	;;#ASMEND
	;; [unrolled: 3-line block ×28, first 2 shown]
	ds_read_b128 v[0:3], v62 offset:20512
	ds_read_b128 v[4:7], v63 offset:32
	;; [unrolled: 1-line block ×6, first 2 shown]
	s_waitcnt lgkmcnt(4)
	;;#ASMSTART
	v_dot2_f32_f16 v88, v0, v4, v88
	;;#ASMEND
	;;#ASMSTART
	v_dot2_f32_f16 v88, v1, v5, v88
	;;#ASMEND
	;;#ASMSTART
	v_dot2_f32_f16 v88, v2, v6, v88
	;;#ASMEND
	;;#ASMSTART
	v_dot2_f32_f16 v88, v3, v7, v88
	;;#ASMEND
	s_waitcnt lgkmcnt(0)
	;;#ASMSTART
	v_dot2_f32_f16 v8, v0, v108, v8
	;;#ASMEND
	;;#ASMSTART
	v_dot2_f32_f16 v8, v1, v109, v8
	;;#ASMEND
	;; [unrolled: 3-line block ×28, first 2 shown]
	ds_read_b128 v[0:3], v62 offset:20528
	ds_read_b128 v[4:7], v63 offset:48
	;; [unrolled: 1-line block ×6, first 2 shown]
	s_waitcnt lgkmcnt(4)
	;;#ASMSTART
	v_dot2_f32_f16 v88, v0, v4, v88
	;;#ASMEND
	;;#ASMSTART
	v_dot2_f32_f16 v88, v1, v5, v88
	;;#ASMEND
	;; [unrolled: 3-line block ×4, first 2 shown]
	s_waitcnt lgkmcnt(0)
	;;#ASMSTART
	v_dot2_f32_f16 v8, v0, v108, v8
	;;#ASMEND
	;;#ASMSTART
	v_dot2_f32_f16 v8, v1, v109, v8
	;;#ASMEND
	;; [unrolled: 3-line block ×28, first 2 shown]
	ds_read_b128 v[0:3], v62 offset:20544
	ds_read_b128 v[4:7], v63 offset:64
	;; [unrolled: 1-line block ×6, first 2 shown]
	s_waitcnt lgkmcnt(4)
	;;#ASMSTART
	v_dot2_f32_f16 v88, v0, v4, v88
	;;#ASMEND
	;;#ASMSTART
	v_dot2_f32_f16 v88, v1, v5, v88
	;;#ASMEND
	;; [unrolled: 3-line block ×4, first 2 shown]
	s_waitcnt lgkmcnt(0)
	;;#ASMSTART
	v_dot2_f32_f16 v8, v0, v108, v8
	;;#ASMEND
	;;#ASMSTART
	v_dot2_f32_f16 v8, v1, v109, v8
	;;#ASMEND
	;; [unrolled: 3-line block ×28, first 2 shown]
	ds_read_b128 v[0:3], v62 offset:20560
	ds_read_b128 v[4:7], v63 offset:80
	;; [unrolled: 1-line block ×6, first 2 shown]
	s_waitcnt lgkmcnt(4)
	;;#ASMSTART
	v_dot2_f32_f16 v88, v0, v4, v88
	;;#ASMEND
	;;#ASMSTART
	v_dot2_f32_f16 v88, v1, v5, v88
	;;#ASMEND
	;; [unrolled: 3-line block ×4, first 2 shown]
	s_waitcnt lgkmcnt(0)
	;;#ASMSTART
	v_dot2_f32_f16 v8, v0, v108, v8
	;;#ASMEND
	;;#ASMSTART
	v_dot2_f32_f16 v8, v1, v109, v8
	;;#ASMEND
	;; [unrolled: 3-line block ×28, first 2 shown]
	ds_read_b128 v[0:3], v62 offset:20576
	ds_read_b128 v[4:7], v63 offset:96
	;; [unrolled: 1-line block ×6, first 2 shown]
	s_waitcnt lgkmcnt(4)
	;;#ASMSTART
	v_dot2_f32_f16 v88, v0, v4, v88
	;;#ASMEND
	;;#ASMSTART
	v_dot2_f32_f16 v88, v1, v5, v88
	;;#ASMEND
	;; [unrolled: 3-line block ×4, first 2 shown]
	s_waitcnt lgkmcnt(0)
	;;#ASMSTART
	v_dot2_f32_f16 v8, v0, v108, v8
	;;#ASMEND
	;;#ASMSTART
	v_dot2_f32_f16 v8, v1, v109, v8
	;;#ASMEND
	;; [unrolled: 3-line block ×28, first 2 shown]
	ds_read_b128 v[0:3], v62 offset:20592
	ds_read_b128 v[4:7], v63 offset:112
	;; [unrolled: 1-line block ×6, first 2 shown]
	s_waitcnt lgkmcnt(4)
	;;#ASMSTART
	v_dot2_f32_f16 v88, v0, v4, v88
	;;#ASMEND
	;;#ASMSTART
	v_dot2_f32_f16 v88, v1, v5, v88
	;;#ASMEND
	;; [unrolled: 3-line block ×4, first 2 shown]
	s_waitcnt lgkmcnt(0)
	;;#ASMSTART
	v_dot2_f32_f16 v8, v0, v108, v8
	;;#ASMEND
	;;#ASMSTART
	v_dot2_f32_f16 v8, v1, v109, v8
	;;#ASMEND
	;; [unrolled: 3-line block ×28, first 2 shown]
	s_barrier
	global_load_dwordx4 v[0:3], v[50:51], off offset:128
	global_load_dwordx4 v[4:7], v[16:17], off offset:128
	s_waitcnt vmcnt(1)
	ds_write_b128 v60, v[0:3]
	s_waitcnt vmcnt(0)
	ds_write_b128 v61, v[4:7]
	s_waitcnt lgkmcnt(0)
	s_barrier
	ds_read_b128 v[0:3], v62 offset:20480
	ds_read_b128 v[4:7], v63 offset:128
	;; [unrolled: 1-line block ×6, first 2 shown]
	s_waitcnt lgkmcnt(4)
	;;#ASMSTART
	v_dot2_f32_f16 v88, v0, v4, v88
	;;#ASMEND
	;;#ASMSTART
	v_dot2_f32_f16 v88, v1, v5, v88
	;;#ASMEND
	;;#ASMSTART
	v_dot2_f32_f16 v88, v2, v6, v88
	;;#ASMEND
	;;#ASMSTART
	v_dot2_f32_f16 v88, v3, v7, v88
	;;#ASMEND
	s_waitcnt lgkmcnt(0)
	;;#ASMSTART
	v_dot2_f32_f16 v8, v0, v108, v8
	;;#ASMEND
	;;#ASMSTART
	v_dot2_f32_f16 v8, v1, v109, v8
	;;#ASMEND
	;; [unrolled: 3-line block ×28, first 2 shown]
	ds_read_b128 v[0:3], v62 offset:20496
	ds_read_b128 v[4:7], v63 offset:144
	;; [unrolled: 1-line block ×6, first 2 shown]
	s_waitcnt lgkmcnt(4)
	;;#ASMSTART
	v_dot2_f32_f16 v88, v0, v4, v88
	;;#ASMEND
	;;#ASMSTART
	v_dot2_f32_f16 v88, v1, v5, v88
	;;#ASMEND
	;; [unrolled: 3-line block ×4, first 2 shown]
	s_waitcnt lgkmcnt(0)
	;;#ASMSTART
	v_dot2_f32_f16 v8, v0, v108, v8
	;;#ASMEND
	;;#ASMSTART
	v_dot2_f32_f16 v8, v1, v109, v8
	;;#ASMEND
	;; [unrolled: 3-line block ×28, first 2 shown]
	ds_read_b128 v[0:3], v62 offset:20512
	ds_read_b128 v[4:7], v63 offset:160
	;; [unrolled: 1-line block ×6, first 2 shown]
	s_waitcnt lgkmcnt(4)
	;;#ASMSTART
	v_dot2_f32_f16 v88, v0, v4, v88
	;;#ASMEND
	;;#ASMSTART
	v_dot2_f32_f16 v88, v1, v5, v88
	;;#ASMEND
	;; [unrolled: 3-line block ×4, first 2 shown]
	s_waitcnt lgkmcnt(0)
	;;#ASMSTART
	v_dot2_f32_f16 v8, v0, v108, v8
	;;#ASMEND
	;;#ASMSTART
	v_dot2_f32_f16 v8, v1, v109, v8
	;;#ASMEND
	;; [unrolled: 3-line block ×28, first 2 shown]
	ds_read_b128 v[0:3], v62 offset:20528
	ds_read_b128 v[4:7], v63 offset:176
	;; [unrolled: 1-line block ×6, first 2 shown]
	s_waitcnt lgkmcnt(4)
	;;#ASMSTART
	v_dot2_f32_f16 v88, v0, v4, v88
	;;#ASMEND
	;;#ASMSTART
	v_dot2_f32_f16 v88, v1, v5, v88
	;;#ASMEND
	;; [unrolled: 3-line block ×4, first 2 shown]
	s_waitcnt lgkmcnt(0)
	;;#ASMSTART
	v_dot2_f32_f16 v8, v0, v108, v8
	;;#ASMEND
	;;#ASMSTART
	v_dot2_f32_f16 v8, v1, v109, v8
	;;#ASMEND
	;; [unrolled: 3-line block ×28, first 2 shown]
	ds_read_b128 v[0:3], v62 offset:20544
	ds_read_b128 v[4:7], v63 offset:192
	;; [unrolled: 1-line block ×6, first 2 shown]
	s_waitcnt lgkmcnt(4)
	;;#ASMSTART
	v_dot2_f32_f16 v88, v0, v4, v88
	;;#ASMEND
	;;#ASMSTART
	v_dot2_f32_f16 v88, v1, v5, v88
	;;#ASMEND
	;; [unrolled: 3-line block ×4, first 2 shown]
	s_waitcnt lgkmcnt(0)
	;;#ASMSTART
	v_dot2_f32_f16 v8, v0, v108, v8
	;;#ASMEND
	;;#ASMSTART
	v_dot2_f32_f16 v8, v1, v109, v8
	;;#ASMEND
	;;#ASMSTART
	v_dot2_f32_f16 v8, v2, v110, v8
	;;#ASMEND
	;;#ASMSTART
	v_dot2_f32_f16 v8, v3, v111, v8
	;;#ASMEND
	;;#ASMSTART
	v_dot2_f32_f16 v89, v96, v4, v89
	;;#ASMEND
	;;#ASMSTART
	v_dot2_f32_f16 v89, v97, v5, v89
	;;#ASMEND
	;;#ASMSTART
	v_dot2_f32_f16 v89, v98, v6, v89
	;;#ASMEND
	;;#ASMSTART
	v_dot2_f32_f16 v89, v99, v7, v89
	;;#ASMEND
	;;#ASMSTART
	v_dot2_f32_f16 v9, v96, v108, v9
	;;#ASMEND
	;;#ASMSTART
	v_dot2_f32_f16 v9, v97, v109, v9
	;;#ASMEND
	;;#ASMSTART
	v_dot2_f32_f16 v9, v98, v110, v9
	;;#ASMEND
	;;#ASMSTART
	v_dot2_f32_f16 v9, v99, v111, v9
	;;#ASMEND
	;;#ASMSTART
	v_dot2_f32_f16 v10, v100, v4, v10
	;;#ASMEND
	;;#ASMSTART
	v_dot2_f32_f16 v10, v101, v5, v10
	;;#ASMEND
	;;#ASMSTART
	v_dot2_f32_f16 v10, v102, v6, v10
	;;#ASMEND
	;;#ASMSTART
	v_dot2_f32_f16 v10, v103, v7, v10
	;;#ASMEND
	;;#ASMSTART
	v_dot2_f32_f16 v11, v100, v108, v11
	;;#ASMEND
	;;#ASMSTART
	v_dot2_f32_f16 v11, v101, v109, v11
	;;#ASMEND
	;;#ASMSTART
	v_dot2_f32_f16 v11, v102, v110, v11
	;;#ASMEND
	;;#ASMSTART
	v_dot2_f32_f16 v11, v103, v111, v11
	;;#ASMEND
	;;#ASMSTART
	v_dot2_f32_f16 v12, v104, v4, v12
	;;#ASMEND
	;;#ASMSTART
	v_dot2_f32_f16 v12, v105, v5, v12
	;;#ASMEND
	;;#ASMSTART
	v_dot2_f32_f16 v12, v106, v6, v12
	;;#ASMEND
	;;#ASMSTART
	v_dot2_f32_f16 v12, v107, v7, v12
	;;#ASMEND
	;;#ASMSTART
	v_dot2_f32_f16 v13, v104, v108, v13
	;;#ASMEND
	;;#ASMSTART
	v_dot2_f32_f16 v13, v105, v109, v13
	;;#ASMEND
	;;#ASMSTART
	v_dot2_f32_f16 v13, v106, v110, v13
	;;#ASMEND
	;;#ASMSTART
	v_dot2_f32_f16 v13, v107, v111, v13
	;;#ASMEND
	ds_read_b128 v[0:3], v62 offset:20560
	ds_read_b128 v[4:7], v63 offset:208
	;; [unrolled: 1-line block ×6, first 2 shown]
	s_waitcnt lgkmcnt(4)
	;;#ASMSTART
	v_dot2_f32_f16 v88, v0, v4, v88
	;;#ASMEND
	;;#ASMSTART
	v_dot2_f32_f16 v88, v1, v5, v88
	;;#ASMEND
	;; [unrolled: 3-line block ×4, first 2 shown]
	s_waitcnt lgkmcnt(0)
	;;#ASMSTART
	v_dot2_f32_f16 v8, v0, v108, v8
	;;#ASMEND
	;;#ASMSTART
	v_dot2_f32_f16 v8, v1, v109, v8
	;;#ASMEND
	;; [unrolled: 3-line block ×28, first 2 shown]
	ds_read_b128 v[0:3], v62 offset:20576
	ds_read_b128 v[4:7], v63 offset:224
	;; [unrolled: 1-line block ×6, first 2 shown]
	s_waitcnt lgkmcnt(4)
	;;#ASMSTART
	v_dot2_f32_f16 v88, v0, v4, v88
	;;#ASMEND
	;;#ASMSTART
	v_dot2_f32_f16 v88, v1, v5, v88
	;;#ASMEND
	;; [unrolled: 3-line block ×4, first 2 shown]
	s_waitcnt lgkmcnt(0)
	;;#ASMSTART
	v_dot2_f32_f16 v8, v0, v108, v8
	;;#ASMEND
	;;#ASMSTART
	v_dot2_f32_f16 v8, v1, v109, v8
	;;#ASMEND
	;; [unrolled: 3-line block ×28, first 2 shown]
	ds_read_b128 v[0:3], v62 offset:20592
	ds_read_b128 v[4:7], v63 offset:240
	ds_read_b128 v[96:99], v62 offset:25200
	ds_read_b128 v[100:103], v62 offset:29808
	ds_read_b128 v[104:107], v62 offset:34416
	ds_read_b128 v[108:111], v63 offset:880
	s_waitcnt lgkmcnt(4)
	;;#ASMSTART
	v_dot2_f32_f16 v88, v0, v4, v88
	;;#ASMEND
	;;#ASMSTART
	v_dot2_f32_f16 v88, v1, v5, v88
	;;#ASMEND
	;; [unrolled: 3-line block ×4, first 2 shown]
	s_waitcnt lgkmcnt(0)
	;;#ASMSTART
	v_dot2_f32_f16 v8, v0, v108, v8
	;;#ASMEND
	;;#ASMSTART
	v_dot2_f32_f16 v8, v1, v109, v8
	;;#ASMEND
	;; [unrolled: 3-line block ×28, first 2 shown]
	s_barrier
	global_load_dwordx4 v[0:3], v[50:51], off offset:256
	global_load_dwordx4 v[4:7], v[16:17], off offset:256
	s_waitcnt vmcnt(1)
	ds_write_b128 v60, v[0:3]
	s_waitcnt vmcnt(0)
	ds_write_b128 v61, v[4:7]
	s_waitcnt lgkmcnt(0)
	s_barrier
	ds_read_b128 v[0:3], v62 offset:20480
	ds_read_b128 v[4:7], v63 offset:256
	;; [unrolled: 1-line block ×6, first 2 shown]
	s_waitcnt lgkmcnt(4)
	;;#ASMSTART
	v_dot2_f32_f16 v88, v0, v4, v88
	;;#ASMEND
	;;#ASMSTART
	v_dot2_f32_f16 v88, v1, v5, v88
	;;#ASMEND
	;;#ASMSTART
	v_dot2_f32_f16 v88, v2, v6, v88
	;;#ASMEND
	;;#ASMSTART
	v_dot2_f32_f16 v88, v3, v7, v88
	;;#ASMEND
	s_waitcnt lgkmcnt(0)
	;;#ASMSTART
	v_dot2_f32_f16 v8, v0, v108, v8
	;;#ASMEND
	;;#ASMSTART
	v_dot2_f32_f16 v8, v1, v109, v8
	;;#ASMEND
	;; [unrolled: 3-line block ×28, first 2 shown]
	ds_read_b128 v[0:3], v62 offset:20496
	ds_read_b128 v[4:7], v63 offset:272
	;; [unrolled: 1-line block ×6, first 2 shown]
	s_waitcnt lgkmcnt(4)
	;;#ASMSTART
	v_dot2_f32_f16 v88, v0, v4, v88
	;;#ASMEND
	;;#ASMSTART
	v_dot2_f32_f16 v88, v1, v5, v88
	;;#ASMEND
	;; [unrolled: 3-line block ×4, first 2 shown]
	s_waitcnt lgkmcnt(0)
	;;#ASMSTART
	v_dot2_f32_f16 v8, v0, v108, v8
	;;#ASMEND
	;;#ASMSTART
	v_dot2_f32_f16 v8, v1, v109, v8
	;;#ASMEND
	;; [unrolled: 3-line block ×28, first 2 shown]
	ds_read_b128 v[0:3], v62 offset:20512
	ds_read_b128 v[4:7], v63 offset:288
	;; [unrolled: 1-line block ×6, first 2 shown]
	s_waitcnt lgkmcnt(4)
	;;#ASMSTART
	v_dot2_f32_f16 v88, v0, v4, v88
	;;#ASMEND
	;;#ASMSTART
	v_dot2_f32_f16 v88, v1, v5, v88
	;;#ASMEND
	;; [unrolled: 3-line block ×4, first 2 shown]
	s_waitcnt lgkmcnt(0)
	;;#ASMSTART
	v_dot2_f32_f16 v8, v0, v108, v8
	;;#ASMEND
	;;#ASMSTART
	v_dot2_f32_f16 v8, v1, v109, v8
	;;#ASMEND
	;;#ASMSTART
	v_dot2_f32_f16 v8, v2, v110, v8
	;;#ASMEND
	;;#ASMSTART
	v_dot2_f32_f16 v8, v3, v111, v8
	;;#ASMEND
	;;#ASMSTART
	v_dot2_f32_f16 v89, v96, v4, v89
	;;#ASMEND
	;;#ASMSTART
	v_dot2_f32_f16 v89, v97, v5, v89
	;;#ASMEND
	;;#ASMSTART
	v_dot2_f32_f16 v89, v98, v6, v89
	;;#ASMEND
	;;#ASMSTART
	v_dot2_f32_f16 v89, v99, v7, v89
	;;#ASMEND
	;;#ASMSTART
	v_dot2_f32_f16 v9, v96, v108, v9
	;;#ASMEND
	;;#ASMSTART
	v_dot2_f32_f16 v9, v97, v109, v9
	;;#ASMEND
	;;#ASMSTART
	v_dot2_f32_f16 v9, v98, v110, v9
	;;#ASMEND
	;;#ASMSTART
	v_dot2_f32_f16 v9, v99, v111, v9
	;;#ASMEND
	;;#ASMSTART
	v_dot2_f32_f16 v10, v100, v4, v10
	;;#ASMEND
	;;#ASMSTART
	v_dot2_f32_f16 v10, v101, v5, v10
	;;#ASMEND
	;;#ASMSTART
	v_dot2_f32_f16 v10, v102, v6, v10
	;;#ASMEND
	;;#ASMSTART
	v_dot2_f32_f16 v10, v103, v7, v10
	;;#ASMEND
	;;#ASMSTART
	v_dot2_f32_f16 v11, v100, v108, v11
	;;#ASMEND
	;;#ASMSTART
	v_dot2_f32_f16 v11, v101, v109, v11
	;;#ASMEND
	;;#ASMSTART
	v_dot2_f32_f16 v11, v102, v110, v11
	;;#ASMEND
	;;#ASMSTART
	v_dot2_f32_f16 v11, v103, v111, v11
	;;#ASMEND
	;;#ASMSTART
	v_dot2_f32_f16 v12, v104, v4, v12
	;;#ASMEND
	;;#ASMSTART
	v_dot2_f32_f16 v12, v105, v5, v12
	;;#ASMEND
	;;#ASMSTART
	v_dot2_f32_f16 v12, v106, v6, v12
	;;#ASMEND
	;;#ASMSTART
	v_dot2_f32_f16 v12, v107, v7, v12
	;;#ASMEND
	;;#ASMSTART
	v_dot2_f32_f16 v13, v104, v108, v13
	;;#ASMEND
	;;#ASMSTART
	v_dot2_f32_f16 v13, v105, v109, v13
	;;#ASMEND
	;;#ASMSTART
	v_dot2_f32_f16 v13, v106, v110, v13
	;;#ASMEND
	;;#ASMSTART
	v_dot2_f32_f16 v13, v107, v111, v13
	;;#ASMEND
	ds_read_b128 v[0:3], v62 offset:20528
	ds_read_b128 v[4:7], v63 offset:304
	;; [unrolled: 1-line block ×6, first 2 shown]
	s_waitcnt lgkmcnt(4)
	;;#ASMSTART
	v_dot2_f32_f16 v88, v0, v4, v88
	;;#ASMEND
	;;#ASMSTART
	v_dot2_f32_f16 v88, v1, v5, v88
	;;#ASMEND
	;; [unrolled: 3-line block ×4, first 2 shown]
	s_waitcnt lgkmcnt(0)
	;;#ASMSTART
	v_dot2_f32_f16 v8, v0, v108, v8
	;;#ASMEND
	;;#ASMSTART
	v_dot2_f32_f16 v8, v1, v109, v8
	;;#ASMEND
	;; [unrolled: 3-line block ×28, first 2 shown]
	ds_read_b128 v[0:3], v62 offset:20544
	ds_read_b128 v[4:7], v63 offset:320
	;; [unrolled: 1-line block ×6, first 2 shown]
	s_waitcnt lgkmcnt(4)
	;;#ASMSTART
	v_dot2_f32_f16 v88, v0, v4, v88
	;;#ASMEND
	;;#ASMSTART
	v_dot2_f32_f16 v88, v1, v5, v88
	;;#ASMEND
	;; [unrolled: 3-line block ×4, first 2 shown]
	s_waitcnt lgkmcnt(0)
	;;#ASMSTART
	v_dot2_f32_f16 v8, v0, v108, v8
	;;#ASMEND
	;;#ASMSTART
	v_dot2_f32_f16 v8, v1, v109, v8
	;;#ASMEND
	;; [unrolled: 3-line block ×28, first 2 shown]
	ds_read_b128 v[0:3], v62 offset:20560
	ds_read_b128 v[4:7], v63 offset:336
	;; [unrolled: 1-line block ×6, first 2 shown]
	s_waitcnt lgkmcnt(4)
	;;#ASMSTART
	v_dot2_f32_f16 v88, v0, v4, v88
	;;#ASMEND
	;;#ASMSTART
	v_dot2_f32_f16 v88, v1, v5, v88
	;;#ASMEND
	;; [unrolled: 3-line block ×4, first 2 shown]
	s_waitcnt lgkmcnt(0)
	;;#ASMSTART
	v_dot2_f32_f16 v8, v0, v108, v8
	;;#ASMEND
	;;#ASMSTART
	v_dot2_f32_f16 v8, v1, v109, v8
	;;#ASMEND
	;; [unrolled: 3-line block ×28, first 2 shown]
	ds_read_b128 v[0:3], v62 offset:20576
	ds_read_b128 v[4:7], v63 offset:352
	ds_read_b128 v[96:99], v62 offset:25184
	ds_read_b128 v[100:103], v62 offset:29792
	ds_read_b128 v[104:107], v62 offset:34400
	ds_read_b128 v[108:111], v63 offset:992
	s_waitcnt lgkmcnt(4)
	;;#ASMSTART
	v_dot2_f32_f16 v88, v0, v4, v88
	;;#ASMEND
	;;#ASMSTART
	v_dot2_f32_f16 v88, v1, v5, v88
	;;#ASMEND
	;; [unrolled: 3-line block ×4, first 2 shown]
	s_waitcnt lgkmcnt(0)
	;;#ASMSTART
	v_dot2_f32_f16 v8, v0, v108, v8
	;;#ASMEND
	;;#ASMSTART
	v_dot2_f32_f16 v8, v1, v109, v8
	;;#ASMEND
	;; [unrolled: 3-line block ×28, first 2 shown]
	ds_read_b128 v[0:3], v62 offset:20592
	ds_read_b128 v[4:7], v63 offset:368
	;; [unrolled: 1-line block ×6, first 2 shown]
	s_waitcnt lgkmcnt(4)
	;;#ASMSTART
	v_dot2_f32_f16 v88, v0, v4, v88
	;;#ASMEND
	;;#ASMSTART
	v_dot2_f32_f16 v88, v1, v5, v88
	;;#ASMEND
	;; [unrolled: 3-line block ×4, first 2 shown]
	s_waitcnt lgkmcnt(0)
	;;#ASMSTART
	v_dot2_f32_f16 v8, v0, v108, v8
	;;#ASMEND
	;;#ASMSTART
	v_dot2_f32_f16 v8, v1, v109, v8
	;;#ASMEND
	;; [unrolled: 3-line block ×28, first 2 shown]
	s_barrier
	global_load_dwordx4 v[0:3], v[50:51], off offset:384
	global_load_dwordx4 v[4:7], v[16:17], off offset:384
	s_waitcnt vmcnt(1)
	ds_write_b128 v60, v[0:3]
	s_waitcnt vmcnt(0)
	ds_write_b128 v61, v[4:7]
	s_waitcnt lgkmcnt(0)
	s_barrier
	ds_read_b128 v[0:3], v62 offset:20480
	ds_read_b128 v[4:7], v63 offset:384
	;; [unrolled: 1-line block ×6, first 2 shown]
	s_waitcnt lgkmcnt(4)
	;;#ASMSTART
	v_dot2_f32_f16 v88, v0, v4, v88
	;;#ASMEND
	;;#ASMSTART
	v_dot2_f32_f16 v88, v1, v5, v88
	;;#ASMEND
	;; [unrolled: 3-line block ×4, first 2 shown]
	s_waitcnt lgkmcnt(0)
	;;#ASMSTART
	v_dot2_f32_f16 v8, v0, v108, v8
	;;#ASMEND
	;;#ASMSTART
	v_dot2_f32_f16 v8, v1, v109, v8
	;;#ASMEND
	;; [unrolled: 3-line block ×28, first 2 shown]
	ds_read_b128 v[0:3], v62 offset:20496
	ds_read_b128 v[4:7], v63 offset:400
	;; [unrolled: 1-line block ×6, first 2 shown]
	s_waitcnt lgkmcnt(4)
	;;#ASMSTART
	v_dot2_f32_f16 v88, v0, v4, v88
	;;#ASMEND
	;;#ASMSTART
	v_dot2_f32_f16 v88, v1, v5, v88
	;;#ASMEND
	;; [unrolled: 3-line block ×4, first 2 shown]
	s_waitcnt lgkmcnt(0)
	;;#ASMSTART
	v_dot2_f32_f16 v8, v0, v108, v8
	;;#ASMEND
	;;#ASMSTART
	v_dot2_f32_f16 v8, v1, v109, v8
	;;#ASMEND
	;; [unrolled: 3-line block ×28, first 2 shown]
	ds_read_b128 v[0:3], v62 offset:20512
	ds_read_b128 v[4:7], v63 offset:416
	;; [unrolled: 1-line block ×6, first 2 shown]
	s_waitcnt lgkmcnt(4)
	;;#ASMSTART
	v_dot2_f32_f16 v88, v0, v4, v88
	;;#ASMEND
	;;#ASMSTART
	v_dot2_f32_f16 v88, v1, v5, v88
	;;#ASMEND
	;; [unrolled: 3-line block ×4, first 2 shown]
	s_waitcnt lgkmcnt(0)
	;;#ASMSTART
	v_dot2_f32_f16 v8, v0, v108, v8
	;;#ASMEND
	;;#ASMSTART
	v_dot2_f32_f16 v8, v1, v109, v8
	;;#ASMEND
	;; [unrolled: 3-line block ×28, first 2 shown]
	ds_read_b128 v[0:3], v62 offset:20528
	ds_read_b128 v[4:7], v63 offset:432
	;; [unrolled: 1-line block ×6, first 2 shown]
	s_waitcnt lgkmcnt(4)
	;;#ASMSTART
	v_dot2_f32_f16 v88, v0, v4, v88
	;;#ASMEND
	;;#ASMSTART
	v_dot2_f32_f16 v88, v1, v5, v88
	;;#ASMEND
	;; [unrolled: 3-line block ×4, first 2 shown]
	s_waitcnt lgkmcnt(0)
	;;#ASMSTART
	v_dot2_f32_f16 v8, v0, v108, v8
	;;#ASMEND
	;;#ASMSTART
	v_dot2_f32_f16 v8, v1, v109, v8
	;;#ASMEND
	;; [unrolled: 3-line block ×28, first 2 shown]
	ds_read_b128 v[0:3], v62 offset:20544
	ds_read_b128 v[4:7], v63 offset:448
	;; [unrolled: 1-line block ×6, first 2 shown]
	s_waitcnt lgkmcnt(4)
	;;#ASMSTART
	v_dot2_f32_f16 v88, v0, v4, v88
	;;#ASMEND
	;;#ASMSTART
	v_dot2_f32_f16 v88, v1, v5, v88
	;;#ASMEND
	;; [unrolled: 3-line block ×4, first 2 shown]
	s_waitcnt lgkmcnt(0)
	;;#ASMSTART
	v_dot2_f32_f16 v8, v0, v108, v8
	;;#ASMEND
	;;#ASMSTART
	v_dot2_f32_f16 v8, v1, v109, v8
	;;#ASMEND
	;; [unrolled: 3-line block ×28, first 2 shown]
	ds_read_b128 v[0:3], v62 offset:20560
	ds_read_b128 v[4:7], v63 offset:464
	;; [unrolled: 1-line block ×6, first 2 shown]
	s_waitcnt lgkmcnt(4)
	;;#ASMSTART
	v_dot2_f32_f16 v88, v0, v4, v88
	;;#ASMEND
	;;#ASMSTART
	v_dot2_f32_f16 v88, v1, v5, v88
	;;#ASMEND
	;; [unrolled: 3-line block ×4, first 2 shown]
	s_waitcnt lgkmcnt(0)
	;;#ASMSTART
	v_dot2_f32_f16 v8, v0, v108, v8
	;;#ASMEND
	;;#ASMSTART
	v_dot2_f32_f16 v8, v1, v109, v8
	;;#ASMEND
	;; [unrolled: 3-line block ×28, first 2 shown]
	ds_read_b128 v[0:3], v62 offset:20576
	ds_read_b128 v[4:7], v63 offset:480
	;; [unrolled: 1-line block ×6, first 2 shown]
	s_waitcnt lgkmcnt(4)
	;;#ASMSTART
	v_dot2_f32_f16 v88, v0, v4, v88
	;;#ASMEND
	;;#ASMSTART
	v_dot2_f32_f16 v88, v1, v5, v88
	;;#ASMEND
	;; [unrolled: 3-line block ×4, first 2 shown]
	s_waitcnt lgkmcnt(0)
	;;#ASMSTART
	v_dot2_f32_f16 v8, v0, v108, v8
	;;#ASMEND
	;;#ASMSTART
	v_dot2_f32_f16 v8, v1, v109, v8
	;;#ASMEND
	;; [unrolled: 3-line block ×28, first 2 shown]
	ds_read_b128 v[0:3], v62 offset:20592
	ds_read_b128 v[4:7], v63 offset:496
	ds_read_b128 v[96:99], v62 offset:25200
	ds_read_b128 v[100:103], v62 offset:29808
	ds_read_b128 v[104:107], v62 offset:34416
	ds_read_b128 v[108:111], v63 offset:1136
	s_waitcnt lgkmcnt(4)
	;;#ASMSTART
	v_dot2_f32_f16 v88, v0, v4, v88
	;;#ASMEND
	;;#ASMSTART
	v_dot2_f32_f16 v88, v1, v5, v88
	;;#ASMEND
	;; [unrolled: 3-line block ×4, first 2 shown]
	s_waitcnt lgkmcnt(0)
	;;#ASMSTART
	v_dot2_f32_f16 v8, v0, v108, v8
	;;#ASMEND
	;;#ASMSTART
	v_dot2_f32_f16 v8, v1, v109, v8
	;;#ASMEND
	;; [unrolled: 3-line block ×28, first 2 shown]
	s_barrier
	global_load_dwordx4 v[0:3], v[50:51], off offset:512
	global_load_dwordx4 v[4:7], v[16:17], off offset:512
	s_waitcnt vmcnt(1)
	ds_write_b128 v60, v[0:3]
	s_waitcnt vmcnt(0)
	ds_write_b128 v61, v[4:7]
	s_waitcnt lgkmcnt(0)
	s_barrier
	ds_read_b128 v[0:3], v62 offset:20480
	ds_read_b128 v[4:7], v63 offset:512
	;; [unrolled: 1-line block ×6, first 2 shown]
	s_waitcnt lgkmcnt(4)
	;;#ASMSTART
	v_dot2_f32_f16 v88, v0, v4, v88
	;;#ASMEND
	;;#ASMSTART
	v_dot2_f32_f16 v88, v1, v5, v88
	;;#ASMEND
	;; [unrolled: 3-line block ×4, first 2 shown]
	s_waitcnt lgkmcnt(0)
	;;#ASMSTART
	v_dot2_f32_f16 v8, v0, v108, v8
	;;#ASMEND
	;;#ASMSTART
	v_dot2_f32_f16 v8, v1, v109, v8
	;;#ASMEND
	;; [unrolled: 3-line block ×28, first 2 shown]
	ds_read_b128 v[0:3], v62 offset:20496
	ds_read_b128 v[4:7], v63 offset:528
	;; [unrolled: 1-line block ×6, first 2 shown]
	s_waitcnt lgkmcnt(4)
	;;#ASMSTART
	v_dot2_f32_f16 v88, v0, v4, v88
	;;#ASMEND
	;;#ASMSTART
	v_dot2_f32_f16 v88, v1, v5, v88
	;;#ASMEND
	;; [unrolled: 3-line block ×4, first 2 shown]
	s_waitcnt lgkmcnt(0)
	;;#ASMSTART
	v_dot2_f32_f16 v8, v0, v108, v8
	;;#ASMEND
	;;#ASMSTART
	v_dot2_f32_f16 v8, v1, v109, v8
	;;#ASMEND
	;; [unrolled: 3-line block ×28, first 2 shown]
	ds_read_b128 v[0:3], v62 offset:20512
	ds_read_b128 v[4:7], v63 offset:544
	ds_read_b128 v[96:99], v62 offset:25120
	ds_read_b128 v[100:103], v62 offset:29728
	ds_read_b128 v[104:107], v62 offset:34336
	ds_read_b128 v[108:111], v63 offset:1184
	s_waitcnt lgkmcnt(4)
	;;#ASMSTART
	v_dot2_f32_f16 v88, v0, v4, v88
	;;#ASMEND
	;;#ASMSTART
	v_dot2_f32_f16 v88, v1, v5, v88
	;;#ASMEND
	;; [unrolled: 3-line block ×4, first 2 shown]
	s_waitcnt lgkmcnt(0)
	;;#ASMSTART
	v_dot2_f32_f16 v8, v0, v108, v8
	;;#ASMEND
	;;#ASMSTART
	v_dot2_f32_f16 v8, v1, v109, v8
	;;#ASMEND
	;; [unrolled: 3-line block ×28, first 2 shown]
	ds_read_b128 v[0:3], v62 offset:20528
	ds_read_b128 v[4:7], v63 offset:560
	;; [unrolled: 1-line block ×6, first 2 shown]
	s_waitcnt lgkmcnt(4)
	;;#ASMSTART
	v_dot2_f32_f16 v88, v0, v4, v88
	;;#ASMEND
	;;#ASMSTART
	v_dot2_f32_f16 v88, v1, v5, v88
	;;#ASMEND
	;;#ASMSTART
	v_dot2_f32_f16 v88, v2, v6, v88
	;;#ASMEND
	;;#ASMSTART
	v_dot2_f32_f16 v88, v3, v7, v88
	;;#ASMEND
	s_waitcnt lgkmcnt(0)
	;;#ASMSTART
	v_dot2_f32_f16 v8, v0, v108, v8
	;;#ASMEND
	;;#ASMSTART
	v_dot2_f32_f16 v8, v1, v109, v8
	;;#ASMEND
	;; [unrolled: 3-line block ×28, first 2 shown]
	ds_read_b128 v[0:3], v62 offset:20544
	ds_read_b128 v[4:7], v63 offset:576
	;; [unrolled: 1-line block ×6, first 2 shown]
	s_waitcnt lgkmcnt(4)
	;;#ASMSTART
	v_dot2_f32_f16 v88, v0, v4, v88
	;;#ASMEND
	;;#ASMSTART
	v_dot2_f32_f16 v88, v1, v5, v88
	;;#ASMEND
	;; [unrolled: 3-line block ×4, first 2 shown]
	s_waitcnt lgkmcnt(0)
	;;#ASMSTART
	v_dot2_f32_f16 v8, v0, v108, v8
	;;#ASMEND
	;;#ASMSTART
	v_dot2_f32_f16 v8, v1, v109, v8
	;;#ASMEND
	;; [unrolled: 3-line block ×28, first 2 shown]
	ds_read_b128 v[0:3], v62 offset:20560
	ds_read_b128 v[4:7], v63 offset:592
	;; [unrolled: 1-line block ×6, first 2 shown]
	s_waitcnt lgkmcnt(4)
	;;#ASMSTART
	v_dot2_f32_f16 v88, v0, v4, v88
	;;#ASMEND
	;;#ASMSTART
	v_dot2_f32_f16 v88, v1, v5, v88
	;;#ASMEND
	;; [unrolled: 3-line block ×4, first 2 shown]
	s_waitcnt lgkmcnt(0)
	;;#ASMSTART
	v_dot2_f32_f16 v8, v0, v108, v8
	;;#ASMEND
	;;#ASMSTART
	v_dot2_f32_f16 v8, v1, v109, v8
	;;#ASMEND
	;; [unrolled: 3-line block ×28, first 2 shown]
	ds_read_b128 v[0:3], v62 offset:20576
	ds_read_b128 v[4:7], v63 offset:608
	;; [unrolled: 1-line block ×6, first 2 shown]
	s_waitcnt lgkmcnt(4)
	;;#ASMSTART
	v_dot2_f32_f16 v88, v0, v4, v88
	;;#ASMEND
	;;#ASMSTART
	v_dot2_f32_f16 v88, v1, v5, v88
	;;#ASMEND
	;; [unrolled: 3-line block ×4, first 2 shown]
	s_waitcnt lgkmcnt(0)
	;;#ASMSTART
	v_dot2_f32_f16 v8, v0, v108, v8
	;;#ASMEND
	;;#ASMSTART
	v_dot2_f32_f16 v8, v1, v109, v8
	;;#ASMEND
	;; [unrolled: 3-line block ×28, first 2 shown]
	ds_read_b128 v[0:3], v62 offset:20592
	ds_read_b128 v[4:7], v63 offset:624
	;; [unrolled: 1-line block ×6, first 2 shown]
	s_waitcnt lgkmcnt(4)
	;;#ASMSTART
	v_dot2_f32_f16 v88, v0, v4, v88
	;;#ASMEND
	;;#ASMSTART
	v_dot2_f32_f16 v88, v1, v5, v88
	;;#ASMEND
	;; [unrolled: 3-line block ×4, first 2 shown]
	s_waitcnt lgkmcnt(0)
	;;#ASMSTART
	v_dot2_f32_f16 v8, v0, v108, v8
	;;#ASMEND
	;;#ASMSTART
	v_dot2_f32_f16 v8, v1, v109, v8
	;;#ASMEND
	;; [unrolled: 3-line block ×28, first 2 shown]
	flat_load_ushort v17, v[14:15]
	flat_load_ushort v50, v[14:15] offset:64
	flat_load_ushort v16, v[14:15] offset:128
	;; [unrolled: 1-line block ×3, first 2 shown]
	s_waitcnt lgkmcnt(0)
	s_barrier
	global_load_dwordx4 v[4:7], v[48:49], off
	global_load_dwordx4 v[0:3], v[18:19], off
	s_mul_hi_i32 s3, s2, s27
	s_mul_i32 s2, s2, s27
	v_add_co_u32_e64 v42, s[0:1], v39, v72
	v_addc_co_u32_e32 v37, vcc, v37, v33, vcc
	s_lshl_b64 s[2:3], s[2:3], 2
	v_addc_co_u32_e64 v43, s[0:1], 0, v36, s[0:1]
	v_add_co_u32_e32 v40, vcc, v38, v72
	s_add_u32 s0, s43, s2
	v_addc_co_u32_e32 v41, vcc, 0, v37, vcc
	s_addc_u32 s1, s44, s3
	v_mov_b32_e32 v36, s1
	v_mov_b32_e32 v37, s1
	v_add_co_u32_e32 v38, vcc, s0, v32
	v_add_co_u32_e64 v39, s[0:1], s0, v30
	s_or_b32 s2, s26, 0x60
	v_addc_co_u32_e64 v36, s[0:1], v36, v31, s[0:1]
	s_mul_hi_i32 s3, s2, s27
	s_mul_i32 s2, s2, s27
	v_add_co_u32_e64 v46, s[0:1], v39, v72
	v_addc_co_u32_e32 v37, vcc, v37, v33, vcc
	s_lshl_b64 s[2:3], s[2:3], 2
	v_addc_co_u32_e64 v47, s[0:1], 0, v36, s[0:1]
	v_add_co_u32_e32 v44, vcc, v38, v72
	s_add_u32 s0, s43, s2
	v_addc_co_u32_e32 v45, vcc, 0, v37, vcc
	s_addc_u32 s1, s44, s3
	v_mov_b32_e32 v36, s1
	v_mov_b32_e32 v37, s1
	v_add_co_u32_e32 v38, vcc, s0, v32
	v_add_co_u32_e64 v39, s[0:1], s0, v30
	v_addc_co_u32_e64 v95, s[0:1], v36, v31, s[0:1]
	v_addc_co_u32_e32 v37, vcc, v37, v33, vcc
	v_add_co_u32_e32 v36, vcc, v38, v72
	v_add_co_u32_e64 v38, s[0:1], v39, v72
	v_addc_co_u32_e64 v39, s[0:1], 0, v95, s[0:1]
	v_addc_co_u32_e32 v37, vcc, 0, v37, vcc
	s_waitcnt vmcnt(0)
	v_cvt_f32_f16_e32 v14, v17
	v_cvt_f32_f16_e32 v15, v50
	;; [unrolled: 1-line block ×4, first 2 shown]
	ds_write_b128 v65, v[4:7]
	v_add_f32_e32 v4, v88, v14
	v_add_f32_e32 v6, v89, v15
	v_pk_add_f32 v[14:15], v[8:9], v[14:15]
	v_mov_b32_e32 v5, v14
	v_mov_b32_e32 v7, v15
	v_pk_add_f32 v[8:9], v[10:11], v[16:17] op_sel_hi:[1,0]
	v_pk_add_f32 v[12:13], v[12:13], v[18:19] op_sel_hi:[1,0]
	;; [unrolled: 1-line block ×6, first 2 shown]
	v_max3_f32 v5, v34, v18, v48
	v_max3_f32 v7, v35, v19, v49
	;; [unrolled: 1-line block ×4, first 2 shown]
	ds_bpermute_b32 v10, v94, v7
	ds_bpermute_b32 v11, v94, v5
	s_waitcnt lgkmcnt(1)
	v_max_f32_e32 v10, v10, v10
	s_waitcnt lgkmcnt(0)
	v_max_f32_e32 v11, v11, v11
	v_max_f32_e32 v7, v7, v10
	v_max_f32_e32 v5, v5, v11
	ds_bpermute_b32 v10, v93, v7
	ds_bpermute_b32 v11, v93, v5
	s_waitcnt lgkmcnt(1)
	v_max_f32_e32 v10, v10, v10
	s_waitcnt lgkmcnt(0)
	v_max_f32_e32 v11, v11, v11
	v_max_f32_e32 v7, v7, v10
	v_max_f32_e32 v5, v5, v11
	ds_bpermute_b32 v10, v92, v7
	ds_bpermute_b32 v11, v92, v5
	s_waitcnt lgkmcnt(1)
	v_max_f32_e32 v10, v10, v10
	s_waitcnt lgkmcnt(0)
	v_max_f32_e32 v11, v11, v11
	v_max_f32_e32 v7, v7, v10
	v_max_f32_e32 v5, v5, v11
	ds_bpermute_b32 v10, v91, v7
	ds_bpermute_b32 v11, v91, v5
	s_waitcnt lgkmcnt(1)
	v_max_f32_e32 v10, v10, v10
	s_waitcnt lgkmcnt(0)
	v_max_f32_e32 v11, v11, v11
	v_max_f32_e32 v7, v7, v10
	v_max_f32_e32 v5, v5, v11
	ds_bpermute_b32 v10, v90, v7
	ds_bpermute_b32 v11, v90, v5
	s_waitcnt lgkmcnt(1)
	v_max_f32_e32 v10, v10, v10
	s_waitcnt lgkmcnt(0)
	v_max_f32_e32 v11, v11, v11
	v_max_f32_e32 v49, v7, v10
	v_max_f32_e32 v48, v5, v11
	v_sub_f32_e32 v16, v4, v48
	v_sub_f32_e32 v17, v6, v48
	v_pk_add_f32 v[8:9], v[8:9], v[48:49] neg_lo:[0,1] neg_hi:[0,1]
	v_mov_b32_e32 v10, v49
	v_pk_add_f32 v[6:7], v[12:13], v[48:49] neg_lo:[0,1] neg_hi:[0,1]
	v_pk_add_f32 v[4:5], v[34:35], v[48:49] neg_lo:[0,1] neg_hi:[0,1]
	v_mul_f32_e32 v12, 0x3fb8aa3b, v16
	v_mul_f32_e32 v13, 0x3fb8aa3b, v17
	;; [unrolled: 1-line block ×4, first 2 shown]
	v_pk_add_f32 v[10:11], v[14:15], v[10:11] op_sel_hi:[1,0] neg_lo:[0,1] neg_hi:[0,1]
	v_mul_f32_e32 v14, 0x3fb8aa3b, v7
	v_mul_f32_e32 v15, 0x3fb8aa3b, v6
	;; [unrolled: 1-line block ×4, first 2 shown]
	v_fma_f32 v88, v16, s41, -v12
	v_rndne_f32_e32 v89, v12
	v_fma_f32 v90, v17, s41, -v13
	v_rndne_f32_e32 v91, v13
	;; [unrolled: 2-line block ×4, first 2 shown]
	v_mul_f32_e32 v96, 0x3fb8aa3b, v11
	v_mul_f32_e32 v97, 0x3fb8aa3b, v10
	v_fma_f32 v98, v7, s41, -v14
	v_rndne_f32_e32 v99, v14
	v_fma_f32 v100, v6, s41, -v15
	v_rndne_f32_e32 v101, v15
	;; [unrolled: 2-line block ×4, first 2 shown]
	v_fmac_f32_e32 v88, 0x32a5705f, v16
	v_sub_f32_e32 v12, v12, v89
	v_fmac_f32_e32 v90, 0x32a5705f, v17
	v_sub_f32_e32 v13, v13, v91
	;; [unrolled: 2-line block ×4, first 2 shown]
	v_fma_f32 v106, v11, s41, -v96
	v_rndne_f32_e32 v107, v96
	v_fma_f32 v108, v10, s41, -v97
	v_rndne_f32_e32 v109, v97
	v_fmac_f32_e32 v98, 0x32a5705f, v7
	v_sub_f32_e32 v14, v14, v99
	v_fmac_f32_e32 v100, 0x32a5705f, v6
	v_sub_f32_e32 v15, v15, v101
	;; [unrolled: 2-line block ×4, first 2 shown]
	v_add_f32_e32 v12, v12, v88
	v_add_f32_e32 v13, v13, v90
	;; [unrolled: 1-line block ×4, first 2 shown]
	v_fmac_f32_e32 v106, 0x32a5705f, v11
	v_sub_f32_e32 v88, v96, v107
	v_fmac_f32_e32 v108, 0x32a5705f, v10
	v_sub_f32_e32 v92, v97, v109
	v_cvt_i32_f32_e32 v89, v89
	v_cvt_i32_f32_e32 v91, v91
	;; [unrolled: 1-line block ×4, first 2 shown]
	v_add_f32_e32 v14, v14, v98
	v_add_f32_e32 v15, v15, v100
	;; [unrolled: 1-line block ×4, first 2 shown]
	v_exp_f32_e32 v12, v12
	v_exp_f32_e32 v13, v13
	v_exp_f32_e32 v18, v18
	v_exp_f32_e32 v19, v19
	v_add_f32_e32 v88, v88, v106
	v_add_f32_e32 v92, v92, v108
	v_cvt_i32_f32_e32 v99, v99
	v_cvt_i32_f32_e32 v101, v101
	v_cvt_i32_f32_e32 v103, v103
	v_cvt_i32_f32_e32 v105, v105
	v_cvt_i32_f32_e32 v90, v107
	v_cvt_i32_f32_e32 v94, v109
	v_exp_f32_e32 v14, v14
	v_exp_f32_e32 v15, v15
	;; [unrolled: 1-line block ×6, first 2 shown]
	v_ldexp_f32 v12, v12, v89
	v_ldexp_f32 v13, v13, v91
	v_cmp_ngt_f32_e32 vcc, s45, v17
	v_ldexp_f32 v18, v18, v93
	v_cmp_ngt_f32_e64 s[0:1], s45, v9
	v_ldexp_f32 v19, v19, v95
	v_cmp_ngt_f32_e64 s[2:3], s45, v8
	v_cmp_ngt_f32_e64 s[16:17], s45, v16
	v_ldexp_f32 v14, v14, v99
	v_cmp_ngt_f32_e64 s[8:9], s45, v7
	v_ldexp_f32 v15, v15, v101
	;; [unrolled: 2-line block ×4, first 2 shown]
	v_cmp_ngt_f32_e64 s[14:15], s45, v4
	v_cndmask_b32_e64 v12, 0, v12, s[16:17]
	v_cndmask_b32_e32 v13, 0, v13, vcc
	v_cmp_nlt_f32_e32 vcc, s46, v17
	v_cndmask_b32_e64 v17, 0, v18, s[0:1]
	v_cmp_nlt_f32_e64 s[0:1], s46, v9
	v_cndmask_b32_e64 v18, 0, v19, s[2:3]
	v_ldexp_f32 v19, v88, v90
	v_cmp_ngt_f32_e64 s[16:17], s45, v11
	v_ldexp_f32 v88, v92, v94
	v_cmp_ngt_f32_e64 s[18:19], s45, v10
	v_cmp_nlt_f32_e64 s[2:3], s46, v8
	v_cndmask_b32_e64 v14, 0, v14, s[8:9]
	v_cmp_nlt_f32_e64 s[8:9], s46, v7
	v_cndmask_b32_e64 v7, 0, v15, s[10:11]
	;; [unrolled: 2-line block ×4, first 2 shown]
	v_cmp_nlt_f32_e64 s[14:15], s46, v4
	v_cmp_nlt_f32_e64 s[20:21], s46, v16
	v_cndmask_b32_e32 v6, v70, v13, vcc
	v_cndmask_b32_e64 v9, v70, v17, s[0:1]
	v_cndmask_b32_e64 v16, 0, v19, s[16:17]
	;; [unrolled: 1-line block ×3, first 2 shown]
	v_cmp_nlt_f32_e32 vcc, s46, v10
	v_cmp_nlt_f32_e64 s[0:1], s46, v11
	v_cndmask_b32_e64 v4, v70, v12, s[20:21]
	v_cndmask_b32_e64 v8, v70, v18, s[2:3]
	;; [unrolled: 1-line block ×6, first 2 shown]
	v_cndmask_b32_e32 v5, v70, v17, vcc
	v_cvt_f16_f32_e32 v10, v4
	v_cvt_f16_f32_e32 v11, v6
	;; [unrolled: 1-line block ×9, first 2 shown]
	v_pk_add_f32 v[4:5], v[4:5], v[6:7]
	v_pk_add_f32 v[4:5], v[8:9], v[4:5]
	v_cndmask_b32_e64 v15, v70, v15, s[12:13]
	v_pk_add_f32 v[4:5], v[12:13], v[4:5]
	v_pack_b32_f16 v6, v17, v16
	v_pk_fma_f32 v[22:23], v[22:23], v[14:15], v[4:5]
	v_pack_b32_f16 v4, v18, v19
	v_pack_b32_f16 v5, v10, v88
	;; [unrolled: 1-line block ×3, first 2 shown]
	v_cvt_f16_f32_e32 v51, v15
	v_pk_mul_f16 v234, v50, v87 op_sel_hi:[0,1]
	v_pk_mul_f16 v235, v50, v86 op_sel_hi:[0,1]
	ds_write2_b32 v71, v5, v7 offset1:32
	ds_write2_b32 v71, v6, v4 offset0:64 offset1:96
	ds_write_b128 v66, v[0:3]
	s_waitcnt lgkmcnt(0)
	s_barrier
	ds_read2_b64 v[86:89], v67 offset1:32
	ds_read_b128 v[90:93], v64
	ds_read_b128 v[94:97], v64 offset:16
	ds_read_b128 v[98:101], v64 offset:32
	ds_read_b128 v[102:105], v64 offset:48
	ds_read2_b64 v[106:109], v67 offset0:64 offset1:96
	ds_read2_b64 v[110:113], v67 offset0:128 offset1:160
	ds_read2_b64 v[114:117], v67 offset0:192 offset1:224
	ds_read2_b64 v[118:121], v73 offset1:32
	ds_read2_b64 v[122:125], v73 offset0:64 offset1:96
	ds_read2_b64 v[126:129], v73 offset0:128 offset1:160
	ds_read2_b64 v[130:133], v73 offset0:192 offset1:224
	ds_read2_b64 v[134:137], v74 offset1:32
	ds_read2_b64 v[138:141], v74 offset0:64 offset1:96
	ds_read2_b64 v[142:145], v74 offset0:128 offset1:160
	ds_read2_b64 v[146:149], v74 offset0:192 offset1:224
	ds_read2_b64 v[150:153], v75 offset1:32
	ds_read2_b64 v[154:157], v75 offset0:64 offset1:96
	ds_read2_b64 v[158:161], v75 offset0:128 offset1:160
	ds_read2_b64 v[162:165], v75 offset0:192 offset1:224
	ds_read2_b64 v[166:169], v76 offset1:32
	ds_read2_b64 v[170:173], v76 offset0:64 offset1:96
	ds_read2_b64 v[174:177], v76 offset0:128 offset1:160
	ds_read2_b64 v[178:181], v76 offset0:192 offset1:224
	ds_read2_b64 v[182:185], v77 offset1:32
	ds_read_b128 v[186:189], v64 offset:64
	ds_read_b128 v[190:193], v64 offset:80
	ds_read2_b64 v[194:197], v77 offset0:64 offset1:96
	ds_read2_b64 v[198:201], v77 offset0:128 offset1:160
	;; [unrolled: 1-line block ×3, first 2 shown]
	ds_read2_b64 v[206:209], v78 offset1:32
	ds_read2_b64 v[210:213], v78 offset0:64 offset1:96
	ds_read2_b64 v[214:217], v78 offset0:128 offset1:160
	;; [unrolled: 1-line block ×3, first 2 shown]
	ds_read2_b64 v[222:225], v79 offset1:32
	ds_read_b128 v[226:229], v64 offset:96
	ds_read_b128 v[0:3], v64 offset:112
	ds_read2_b64 v[230:233], v79 offset0:64 offset1:96
	ds_read2_b64 v[16:19], v79 offset0:128 offset1:160
	ds_read2_b64 v[4:7], v79 offset0:192 offset1:224
	s_waitcnt lgkmcnt(0)
	s_barrier
	global_load_dwordx4 v[8:11], v[42:43], off
	global_load_dwordx4 v[12:15], v[40:41], off
	v_pk_mul_f16 v83, v51, v83 op_sel_hi:[0,1]
	v_pk_mul_f16 v82, v51, v82 op_sel_hi:[0,1]
	;; [unrolled: 1-line block ×4, first 2 shown]
	v_pk_mul_f16 v41, v86, v90 op_sel:[0,1]
	v_pk_mul_f16 v42, v87, v90 op_sel_hi:[1,0]
	v_pk_fma_f16 v43, v87, v90, v83 op_sel:[0,1,0]
	v_pk_fma_f16 v83, v88, v90, v234 op_sel_hi:[1,0,1]
	v_pk_fma_f16 v82, v88, v90, v82 op_sel:[0,1,0]
	v_pk_fma_f16 v86, v89, v90, v235 op_sel_hi:[1,0,1]
	;; [unrolled: 2-line block ×3, first 2 shown]
	v_pk_fma_f16 v41, v51, v81, v41 op_sel_hi:[0,1,1]
	v_pk_fma_f16 v42, v50, v84, v42 op_sel_hi:[0,1,1]
	v_pk_fma_f16 v43, v107, v91, v43 op_sel:[0,1,0]
	v_pk_fma_f16 v50, v108, v91, v83 op_sel_hi:[1,0,1]
	v_pk_fma_f16 v51, v108, v91, v82 op_sel:[0,1,0]
	v_pk_fma_f16 v81, v109, v91, v86 op_sel_hi:[1,0,1]
	v_pk_fma_f16 v80, v109, v91, v80 op_sel:[0,1,0]
	v_pk_fma_f16 v40, v106, v91, v40 op_sel_hi:[1,0,1]
	v_pk_fma_f16 v41, v106, v91, v41 op_sel:[0,1,0]
	v_pk_fma_f16 v42, v107, v91, v42 op_sel_hi:[1,0,1]
	v_pk_fma_f16 v43, v111, v92, v43 op_sel:[0,1,0]
	v_pk_fma_f16 v50, v112, v92, v50 op_sel_hi:[1,0,1]
	v_pk_fma_f16 v51, v112, v92, v51 op_sel:[0,1,0]
	v_pk_fma_f16 v81, v113, v92, v81 op_sel_hi:[1,0,1]
	v_pk_fma_f16 v80, v113, v92, v80 op_sel:[0,1,0]
	v_pk_fma_f16 v40, v110, v92, v40 op_sel_hi:[1,0,1]
	v_pk_fma_f16 v41, v110, v92, v41 op_sel:[0,1,0]
	v_pk_fma_f16 v42, v111, v92, v42 op_sel_hi:[1,0,1]
	v_pk_fma_f16 v43, v115, v93, v43 op_sel:[0,1,0]
	v_pk_fma_f16 v50, v116, v93, v50 op_sel_hi:[1,0,1]
	v_pk_fma_f16 v51, v116, v93, v51 op_sel:[0,1,0]
	v_pk_fma_f16 v81, v117, v93, v81 op_sel_hi:[1,0,1]
	v_pk_fma_f16 v80, v117, v93, v80 op_sel:[0,1,0]
	v_pk_fma_f16 v40, v114, v93, v40 op_sel_hi:[1,0,1]
	v_pk_fma_f16 v41, v114, v93, v41 op_sel:[0,1,0]
	v_pk_fma_f16 v42, v115, v93, v42 op_sel_hi:[1,0,1]
	v_pk_fma_f16 v43, v119, v94, v43 op_sel:[0,1,0]
	v_pk_fma_f16 v50, v120, v94, v50 op_sel_hi:[1,0,1]
	v_pk_fma_f16 v51, v120, v94, v51 op_sel:[0,1,0]
	v_pk_fma_f16 v81, v121, v94, v81 op_sel_hi:[1,0,1]
	v_pk_fma_f16 v80, v121, v94, v80 op_sel:[0,1,0]
	v_pk_fma_f16 v40, v118, v94, v40 op_sel_hi:[1,0,1]
	v_pk_fma_f16 v41, v118, v94, v41 op_sel:[0,1,0]
	v_pk_fma_f16 v42, v119, v94, v42 op_sel_hi:[1,0,1]
	v_pk_fma_f16 v43, v123, v95, v43 op_sel:[0,1,0]
	v_pk_fma_f16 v50, v124, v95, v50 op_sel_hi:[1,0,1]
	v_pk_fma_f16 v51, v124, v95, v51 op_sel:[0,1,0]
	v_pk_fma_f16 v81, v125, v95, v81 op_sel_hi:[1,0,1]
	v_pk_fma_f16 v80, v125, v95, v80 op_sel:[0,1,0]
	v_pk_fma_f16 v40, v122, v95, v40 op_sel_hi:[1,0,1]
	v_pk_fma_f16 v41, v122, v95, v41 op_sel:[0,1,0]
	v_pk_fma_f16 v42, v123, v95, v42 op_sel_hi:[1,0,1]
	v_pk_fma_f16 v43, v127, v96, v43 op_sel:[0,1,0]
	v_pk_fma_f16 v50, v128, v96, v50 op_sel_hi:[1,0,1]
	v_pk_fma_f16 v51, v128, v96, v51 op_sel:[0,1,0]
	v_pk_fma_f16 v81, v129, v96, v81 op_sel_hi:[1,0,1]
	v_pk_fma_f16 v80, v129, v96, v80 op_sel:[0,1,0]
	v_pk_fma_f16 v40, v126, v96, v40 op_sel_hi:[1,0,1]
	v_pk_fma_f16 v41, v126, v96, v41 op_sel:[0,1,0]
	v_pk_fma_f16 v42, v127, v96, v42 op_sel_hi:[1,0,1]
	v_pk_fma_f16 v43, v131, v97, v43 op_sel:[0,1,0]
	v_pk_fma_f16 v50, v132, v97, v50 op_sel_hi:[1,0,1]
	v_pk_fma_f16 v51, v132, v97, v51 op_sel:[0,1,0]
	v_pk_fma_f16 v81, v133, v97, v81 op_sel_hi:[1,0,1]
	v_pk_fma_f16 v80, v133, v97, v80 op_sel:[0,1,0]
	v_pk_fma_f16 v40, v130, v97, v40 op_sel_hi:[1,0,1]
	v_pk_fma_f16 v41, v130, v97, v41 op_sel:[0,1,0]
	v_pk_fma_f16 v42, v131, v97, v42 op_sel_hi:[1,0,1]
	v_pk_fma_f16 v43, v135, v98, v43 op_sel:[0,1,0]
	v_pk_fma_f16 v50, v136, v98, v50 op_sel_hi:[1,0,1]
	v_pk_fma_f16 v51, v136, v98, v51 op_sel:[0,1,0]
	v_pk_fma_f16 v81, v137, v98, v81 op_sel_hi:[1,0,1]
	v_pk_fma_f16 v80, v137, v98, v80 op_sel:[0,1,0]
	v_pk_fma_f16 v40, v134, v98, v40 op_sel_hi:[1,0,1]
	v_pk_fma_f16 v41, v134, v98, v41 op_sel:[0,1,0]
	v_pk_fma_f16 v42, v135, v98, v42 op_sel_hi:[1,0,1]
	v_pk_fma_f16 v43, v139, v99, v43 op_sel:[0,1,0]
	v_pk_fma_f16 v50, v140, v99, v50 op_sel_hi:[1,0,1]
	v_pk_fma_f16 v51, v140, v99, v51 op_sel:[0,1,0]
	v_pk_fma_f16 v81, v141, v99, v81 op_sel_hi:[1,0,1]
	v_pk_fma_f16 v80, v141, v99, v80 op_sel:[0,1,0]
	v_pk_fma_f16 v40, v138, v99, v40 op_sel_hi:[1,0,1]
	v_pk_fma_f16 v41, v138, v99, v41 op_sel:[0,1,0]
	v_pk_fma_f16 v42, v139, v99, v42 op_sel_hi:[1,0,1]
	v_pk_fma_f16 v43, v143, v100, v43 op_sel:[0,1,0]
	v_pk_fma_f16 v50, v144, v100, v50 op_sel_hi:[1,0,1]
	v_pk_fma_f16 v51, v144, v100, v51 op_sel:[0,1,0]
	v_pk_fma_f16 v81, v145, v100, v81 op_sel_hi:[1,0,1]
	v_pk_fma_f16 v80, v145, v100, v80 op_sel:[0,1,0]
	v_pk_fma_f16 v40, v142, v100, v40 op_sel_hi:[1,0,1]
	v_pk_fma_f16 v41, v142, v100, v41 op_sel:[0,1,0]
	v_pk_fma_f16 v42, v143, v100, v42 op_sel_hi:[1,0,1]
	v_pk_fma_f16 v43, v147, v101, v43 op_sel:[0,1,0]
	v_pk_fma_f16 v50, v148, v101, v50 op_sel_hi:[1,0,1]
	v_pk_fma_f16 v51, v148, v101, v51 op_sel:[0,1,0]
	v_pk_fma_f16 v81, v149, v101, v81 op_sel_hi:[1,0,1]
	v_pk_fma_f16 v80, v149, v101, v80 op_sel:[0,1,0]
	v_pk_fma_f16 v40, v146, v101, v40 op_sel_hi:[1,0,1]
	v_pk_fma_f16 v41, v146, v101, v41 op_sel:[0,1,0]
	v_pk_fma_f16 v42, v147, v101, v42 op_sel_hi:[1,0,1]
	v_pk_fma_f16 v43, v151, v102, v43 op_sel:[0,1,0]
	v_pk_fma_f16 v50, v152, v102, v50 op_sel_hi:[1,0,1]
	v_pk_fma_f16 v51, v152, v102, v51 op_sel:[0,1,0]
	v_pk_fma_f16 v81, v153, v102, v81 op_sel_hi:[1,0,1]
	v_pk_fma_f16 v80, v153, v102, v80 op_sel:[0,1,0]
	v_pk_fma_f16 v40, v150, v102, v40 op_sel_hi:[1,0,1]
	v_pk_fma_f16 v41, v150, v102, v41 op_sel:[0,1,0]
	v_pk_fma_f16 v42, v151, v102, v42 op_sel_hi:[1,0,1]
	v_pk_fma_f16 v43, v155, v103, v43 op_sel:[0,1,0]
	v_pk_fma_f16 v50, v156, v103, v50 op_sel_hi:[1,0,1]
	v_pk_fma_f16 v51, v156, v103, v51 op_sel:[0,1,0]
	v_pk_fma_f16 v81, v157, v103, v81 op_sel_hi:[1,0,1]
	v_pk_fma_f16 v80, v157, v103, v80 op_sel:[0,1,0]
	v_pk_fma_f16 v40, v154, v103, v40 op_sel_hi:[1,0,1]
	v_pk_fma_f16 v41, v154, v103, v41 op_sel:[0,1,0]
	v_pk_fma_f16 v42, v155, v103, v42 op_sel_hi:[1,0,1]
	v_pk_fma_f16 v43, v159, v104, v43 op_sel:[0,1,0]
	v_pk_fma_f16 v50, v160, v104, v50 op_sel_hi:[1,0,1]
	v_pk_fma_f16 v51, v160, v104, v51 op_sel:[0,1,0]
	v_pk_fma_f16 v81, v161, v104, v81 op_sel_hi:[1,0,1]
	v_pk_fma_f16 v80, v161, v104, v80 op_sel:[0,1,0]
	v_pk_fma_f16 v40, v158, v104, v40 op_sel_hi:[1,0,1]
	v_pk_fma_f16 v41, v158, v104, v41 op_sel:[0,1,0]
	v_pk_fma_f16 v42, v159, v104, v42 op_sel_hi:[1,0,1]
	v_pk_fma_f16 v43, v163, v105, v43 op_sel:[0,1,0]
	v_pk_fma_f16 v50, v164, v105, v50 op_sel_hi:[1,0,1]
	v_pk_fma_f16 v51, v164, v105, v51 op_sel:[0,1,0]
	v_pk_fma_f16 v81, v165, v105, v81 op_sel_hi:[1,0,1]
	v_pk_fma_f16 v80, v165, v105, v80 op_sel:[0,1,0]
	v_pk_fma_f16 v40, v162, v105, v40 op_sel_hi:[1,0,1]
	v_pk_fma_f16 v41, v162, v105, v41 op_sel:[0,1,0]
	v_pk_fma_f16 v42, v163, v105, v42 op_sel_hi:[1,0,1]
	v_pk_fma_f16 v43, v167, v186, v43 op_sel:[0,1,0]
	v_pk_fma_f16 v50, v168, v186, v50 op_sel_hi:[1,0,1]
	v_pk_fma_f16 v51, v168, v186, v51 op_sel:[0,1,0]
	v_pk_fma_f16 v81, v169, v186, v81 op_sel_hi:[1,0,1]
	v_pk_fma_f16 v80, v169, v186, v80 op_sel:[0,1,0]
	v_pk_fma_f16 v40, v166, v186, v40 op_sel_hi:[1,0,1]
	v_pk_fma_f16 v41, v166, v186, v41 op_sel:[0,1,0]
	v_pk_fma_f16 v42, v167, v186, v42 op_sel_hi:[1,0,1]
	v_pk_fma_f16 v43, v171, v187, v43 op_sel:[0,1,0]
	v_pk_fma_f16 v50, v172, v187, v50 op_sel_hi:[1,0,1]
	v_pk_fma_f16 v51, v172, v187, v51 op_sel:[0,1,0]
	v_pk_fma_f16 v81, v173, v187, v81 op_sel_hi:[1,0,1]
	v_pk_fma_f16 v80, v173, v187, v80 op_sel:[0,1,0]
	v_pk_fma_f16 v40, v170, v187, v40 op_sel_hi:[1,0,1]
	v_pk_fma_f16 v41, v170, v187, v41 op_sel:[0,1,0]
	v_pk_fma_f16 v42, v171, v187, v42 op_sel_hi:[1,0,1]
	v_pk_fma_f16 v43, v175, v188, v43 op_sel:[0,1,0]
	v_pk_fma_f16 v50, v176, v188, v50 op_sel_hi:[1,0,1]
	v_pk_fma_f16 v51, v176, v188, v51 op_sel:[0,1,0]
	v_pk_fma_f16 v81, v177, v188, v81 op_sel_hi:[1,0,1]
	v_pk_fma_f16 v80, v177, v188, v80 op_sel:[0,1,0]
	v_pk_fma_f16 v40, v174, v188, v40 op_sel_hi:[1,0,1]
	v_pk_fma_f16 v41, v174, v188, v41 op_sel:[0,1,0]
	v_pk_fma_f16 v42, v175, v188, v42 op_sel_hi:[1,0,1]
	v_pk_fma_f16 v43, v179, v189, v43 op_sel:[0,1,0]
	v_pk_fma_f16 v50, v180, v189, v50 op_sel_hi:[1,0,1]
	v_pk_fma_f16 v51, v180, v189, v51 op_sel:[0,1,0]
	v_pk_fma_f16 v81, v181, v189, v81 op_sel_hi:[1,0,1]
	v_pk_fma_f16 v80, v181, v189, v80 op_sel:[0,1,0]
	v_pk_fma_f16 v40, v178, v189, v40 op_sel_hi:[1,0,1]
	v_pk_fma_f16 v41, v178, v189, v41 op_sel:[0,1,0]
	v_pk_fma_f16 v42, v179, v189, v42 op_sel_hi:[1,0,1]
	v_pk_fma_f16 v43, v183, v190, v43 op_sel:[0,1,0]
	v_pk_fma_f16 v50, v184, v190, v50 op_sel_hi:[1,0,1]
	v_pk_fma_f16 v51, v184, v190, v51 op_sel:[0,1,0]
	v_pk_fma_f16 v81, v185, v190, v81 op_sel_hi:[1,0,1]
	v_pk_fma_f16 v80, v185, v190, v80 op_sel:[0,1,0]
	v_pk_fma_f16 v40, v182, v190, v40 op_sel_hi:[1,0,1]
	v_pk_fma_f16 v41, v182, v190, v41 op_sel:[0,1,0]
	v_pk_fma_f16 v42, v183, v190, v42 op_sel_hi:[1,0,1]
	v_pk_fma_f16 v43, v195, v191, v43 op_sel:[0,1,0]
	v_pk_fma_f16 v50, v196, v191, v50 op_sel_hi:[1,0,1]
	v_pk_fma_f16 v51, v196, v191, v51 op_sel:[0,1,0]
	v_pk_fma_f16 v81, v197, v191, v81 op_sel_hi:[1,0,1]
	v_pk_fma_f16 v80, v197, v191, v80 op_sel:[0,1,0]
	v_pk_fma_f16 v40, v194, v191, v40 op_sel_hi:[1,0,1]
	v_pk_fma_f16 v41, v194, v191, v41 op_sel:[0,1,0]
	v_pk_fma_f16 v42, v195, v191, v42 op_sel_hi:[1,0,1]
	v_pk_fma_f16 v43, v199, v192, v43 op_sel:[0,1,0]
	v_pk_fma_f16 v50, v200, v192, v50 op_sel_hi:[1,0,1]
	v_pk_fma_f16 v51, v200, v192, v51 op_sel:[0,1,0]
	v_pk_fma_f16 v81, v201, v192, v81 op_sel_hi:[1,0,1]
	v_pk_fma_f16 v80, v201, v192, v80 op_sel:[0,1,0]
	v_pk_fma_f16 v40, v198, v192, v40 op_sel_hi:[1,0,1]
	v_pk_fma_f16 v41, v198, v192, v41 op_sel:[0,1,0]
	v_pk_fma_f16 v42, v199, v192, v42 op_sel_hi:[1,0,1]
	v_pk_fma_f16 v43, v203, v193, v43 op_sel:[0,1,0]
	v_pk_fma_f16 v50, v204, v193, v50 op_sel_hi:[1,0,1]
	v_pk_fma_f16 v51, v204, v193, v51 op_sel:[0,1,0]
	v_pk_fma_f16 v81, v205, v193, v81 op_sel_hi:[1,0,1]
	v_pk_fma_f16 v80, v205, v193, v80 op_sel:[0,1,0]
	v_pk_fma_f16 v40, v202, v193, v40 op_sel_hi:[1,0,1]
	v_pk_fma_f16 v41, v202, v193, v41 op_sel:[0,1,0]
	v_pk_fma_f16 v42, v203, v193, v42 op_sel_hi:[1,0,1]
	v_pk_fma_f16 v43, v207, v226, v43 op_sel:[0,1,0]
	v_pk_fma_f16 v50, v208, v226, v50 op_sel_hi:[1,0,1]
	v_pk_fma_f16 v51, v208, v226, v51 op_sel:[0,1,0]
	v_pk_fma_f16 v81, v209, v226, v81 op_sel_hi:[1,0,1]
	v_pk_fma_f16 v80, v209, v226, v80 op_sel:[0,1,0]
	v_pk_fma_f16 v40, v206, v226, v40 op_sel_hi:[1,0,1]
	v_pk_fma_f16 v41, v206, v226, v41 op_sel:[0,1,0]
	v_pk_fma_f16 v42, v207, v226, v42 op_sel_hi:[1,0,1]
	v_pk_fma_f16 v43, v211, v227, v43 op_sel:[0,1,0]
	v_pk_fma_f16 v50, v212, v227, v50 op_sel_hi:[1,0,1]
	v_pk_fma_f16 v51, v212, v227, v51 op_sel:[0,1,0]
	v_pk_fma_f16 v81, v213, v227, v81 op_sel_hi:[1,0,1]
	v_pk_fma_f16 v80, v213, v227, v80 op_sel:[0,1,0]
	v_pk_fma_f16 v40, v210, v227, v40 op_sel_hi:[1,0,1]
	v_pk_fma_f16 v41, v210, v227, v41 op_sel:[0,1,0]
	v_pk_fma_f16 v42, v211, v227, v42 op_sel_hi:[1,0,1]
	v_pk_fma_f16 v43, v215, v228, v43 op_sel:[0,1,0]
	v_pk_fma_f16 v50, v216, v228, v50 op_sel_hi:[1,0,1]
	v_pk_fma_f16 v51, v216, v228, v51 op_sel:[0,1,0]
	v_pk_fma_f16 v81, v217, v228, v81 op_sel_hi:[1,0,1]
	v_pk_fma_f16 v80, v217, v228, v80 op_sel:[0,1,0]
	v_pk_fma_f16 v40, v214, v228, v40 op_sel_hi:[1,0,1]
	v_pk_fma_f16 v41, v214, v228, v41 op_sel:[0,1,0]
	v_pk_fma_f16 v42, v215, v228, v42 op_sel_hi:[1,0,1]
	v_pk_fma_f16 v43, v219, v229, v43 op_sel:[0,1,0]
	v_pk_fma_f16 v50, v220, v229, v50 op_sel_hi:[1,0,1]
	v_pk_fma_f16 v51, v220, v229, v51 op_sel:[0,1,0]
	v_pk_fma_f16 v81, v221, v229, v81 op_sel_hi:[1,0,1]
	v_pk_fma_f16 v80, v221, v229, v80 op_sel:[0,1,0]
	v_pk_fma_f16 v40, v218, v229, v40 op_sel_hi:[1,0,1]
	v_pk_fma_f16 v41, v218, v229, v41 op_sel:[0,1,0]
	v_pk_fma_f16 v42, v219, v229, v42 op_sel_hi:[1,0,1]
	v_pk_fma_f16 v43, v223, v0, v43 op_sel:[0,1,0]
	v_pk_fma_f16 v50, v224, v0, v50 op_sel_hi:[1,0,1]
	v_pk_fma_f16 v51, v224, v0, v51 op_sel:[0,1,0]
	v_pk_fma_f16 v81, v225, v0, v81 op_sel_hi:[1,0,1]
	v_pk_fma_f16 v80, v225, v0, v80 op_sel:[0,1,0]
	v_pk_fma_f16 v40, v222, v0, v40 op_sel_hi:[1,0,1]
	v_pk_fma_f16 v41, v222, v0, v41 op_sel:[0,1,0]
	v_pk_fma_f16 v0, v223, v0, v42 op_sel_hi:[1,0,1]
	v_pk_fma_f16 v42, v231, v1, v43 op_sel:[0,1,0]
	v_pk_fma_f16 v43, v232, v1, v50 op_sel_hi:[1,0,1]
	v_pk_fma_f16 v50, v232, v1, v51 op_sel:[0,1,0]
	v_pk_fma_f16 v51, v233, v1, v81 op_sel_hi:[1,0,1]
	v_pk_fma_f16 v80, v233, v1, v80 op_sel:[0,1,0]
	v_pk_fma_f16 v40, v230, v1, v40 op_sel_hi:[1,0,1]
	v_pk_fma_f16 v41, v230, v1, v41 op_sel:[0,1,0]
	v_pk_fma_f16 v0, v231, v1, v0 op_sel_hi:[1,0,1]
	v_pk_fma_f16 v1, v17, v2, v42 op_sel:[0,1,0]
	v_pk_fma_f16 v42, v18, v2, v43 op_sel_hi:[1,0,1]
	v_pk_fma_f16 v18, v18, v2, v50 op_sel:[0,1,0]
	v_pk_fma_f16 v43, v19, v2, v51 op_sel_hi:[1,0,1]
	v_pk_fma_f16 v19, v19, v2, v80 op_sel:[0,1,0]
	v_pk_fma_f16 v40, v16, v2, v40 op_sel_hi:[1,0,1]
	v_pk_fma_f16 v16, v16, v2, v41 op_sel:[0,1,0]
	v_pk_fma_f16 v0, v17, v2, v0 op_sel_hi:[1,0,1]
	v_pk_fma_f16 v50, v5, v3, v1 op_sel:[0,1,0]
	v_pk_fma_f16 v51, v6, v3, v42 op_sel_hi:[1,0,1]
	v_pk_fma_f16 v224, v6, v3, v18 op_sel:[0,1,0]
	v_pk_fma_f16 v225, v7, v3, v43 op_sel_hi:[1,0,1]
	v_pk_fma_f16 v226, v7, v3, v19 op_sel:[0,1,0]
	v_pk_fma_f16 v227, v4, v3, v40 op_sel_hi:[1,0,1]
	v_pk_fma_f16 v228, v4, v3, v16 op_sel:[0,1,0]
	v_pk_fma_f16 v229, v5, v3, v0 op_sel_hi:[1,0,1]
	s_waitcnt vmcnt(1)
	ds_write_b128 v65, v[8:11]
	s_waitcnt vmcnt(0)
	ds_write_b128 v66, v[12:15]
	s_waitcnt lgkmcnt(0)
	s_barrier
	ds_read2_b64 v[16:19], v67 offset1:32
	ds_read_b128 v[40:43], v64 offset:128
	ds_read_b128 v[80:83], v64 offset:144
	;; [unrolled: 1-line block ×4, first 2 shown]
	ds_read2_b64 v[92:95], v67 offset0:64 offset1:96
	ds_read2_b64 v[96:99], v67 offset0:128 offset1:160
	ds_read2_b64 v[100:103], v67 offset0:192 offset1:224
	ds_read2_b64 v[104:107], v73 offset1:32
	ds_read2_b64 v[108:111], v73 offset0:64 offset1:96
	ds_read2_b64 v[112:115], v73 offset0:128 offset1:160
	ds_read2_b64 v[116:119], v73 offset0:192 offset1:224
	ds_read2_b64 v[120:123], v74 offset1:32
	;; [unrolled: 4-line block ×5, first 2 shown]
	ds_read_b128 v[172:175], v64 offset:192
	ds_read_b128 v[176:179], v64 offset:208
	ds_read2_b64 v[180:183], v77 offset0:64 offset1:96
	ds_read2_b64 v[184:187], v77 offset0:128 offset1:160
	;; [unrolled: 1-line block ×3, first 2 shown]
	ds_read2_b64 v[192:195], v78 offset1:32
	ds_read2_b64 v[196:199], v78 offset0:64 offset1:96
	ds_read2_b64 v[200:203], v78 offset0:128 offset1:160
	;; [unrolled: 1-line block ×3, first 2 shown]
	ds_read2_b64 v[208:211], v79 offset1:32
	ds_read_b128 v[212:215], v64 offset:224
	ds_read_b128 v[0:3], v64 offset:240
	ds_read2_b64 v[216:219], v79 offset0:64 offset1:96
	ds_read2_b64 v[220:223], v79 offset0:128 offset1:160
	;; [unrolled: 1-line block ×3, first 2 shown]
	s_waitcnt lgkmcnt(0)
	s_barrier
	global_load_dwordx4 v[8:11], v[46:47], off
	global_load_dwordx4 v[12:15], v[44:45], off
	v_pk_fma_f16 v44, v16, v40, v227 op_sel_hi:[1,0,1]
	v_pk_fma_f16 v16, v16, v40, v228 op_sel:[0,1,0]
	v_pk_fma_f16 v45, v17, v40, v229 op_sel_hi:[1,0,1]
	v_pk_fma_f16 v17, v17, v40, v50 op_sel:[0,1,0]
	;; [unrolled: 2-line block ×128, first 2 shown]
	s_waitcnt vmcnt(1)
	ds_write_b128 v65, v[8:11]
	s_waitcnt vmcnt(0)
	ds_write_b128 v66, v[12:15]
	s_waitcnt lgkmcnt(0)
	s_barrier
	ds_read2_b64 v[16:19], v67 offset1:32
	ds_read_b128 v[40:43], v64 offset:256
	ds_read_b128 v[44:47], v64 offset:272
	;; [unrolled: 1-line block ×4, first 2 shown]
	ds_read2_b64 v[88:91], v67 offset0:64 offset1:96
	ds_read2_b64 v[92:95], v67 offset0:128 offset1:160
	ds_read2_b64 v[96:99], v67 offset0:192 offset1:224
	ds_read2_b64 v[100:103], v73 offset1:32
	ds_read2_b64 v[104:107], v73 offset0:64 offset1:96
	ds_read2_b64 v[108:111], v73 offset0:128 offset1:160
	ds_read2_b64 v[112:115], v73 offset0:192 offset1:224
	ds_read2_b64 v[116:119], v74 offset1:32
	;; [unrolled: 4-line block ×5, first 2 shown]
	ds_read_b128 v[168:171], v64 offset:320
	ds_read_b128 v[172:175], v64 offset:336
	ds_read2_b64 v[176:179], v77 offset0:64 offset1:96
	ds_read2_b64 v[180:183], v77 offset0:128 offset1:160
	;; [unrolled: 1-line block ×3, first 2 shown]
	ds_read2_b64 v[188:191], v78 offset1:32
	ds_read2_b64 v[192:195], v78 offset0:64 offset1:96
	ds_read2_b64 v[196:199], v78 offset0:128 offset1:160
	;; [unrolled: 1-line block ×3, first 2 shown]
	ds_read2_b64 v[204:207], v79 offset1:32
	ds_read_b128 v[208:211], v64 offset:352
	ds_read_b128 v[0:3], v64 offset:368
	ds_read2_b64 v[212:215], v79 offset0:64 offset1:96
	ds_read2_b64 v[216:219], v79 offset0:128 offset1:160
	;; [unrolled: 1-line block ×3, first 2 shown]
	s_waitcnt lgkmcnt(0)
	s_barrier
	global_load_dwordx4 v[8:11], v[38:39], off
	global_load_dwordx4 v[12:15], v[36:37], off
	v_pk_fma_f16 v36, v16, v40, v50 op_sel_hi:[1,0,1]
	v_pk_fma_f16 v16, v16, v40, v51 op_sel:[0,1,0]
	v_pk_fma_f16 v37, v17, v40, v220 op_sel_hi:[1,0,1]
	v_pk_fma_f16 v17, v17, v40, v221 op_sel:[0,1,0]
	;; [unrolled: 2-line block ×128, first 2 shown]
	s_waitcnt vmcnt(1)
	ds_write_b128 v65, v[8:11]
	s_waitcnt vmcnt(0)
	ds_write_b128 v66, v[12:15]
	s_waitcnt lgkmcnt(0)
	s_barrier
	ds_read2_b64 v[12:15], v67 offset1:32
	ds_read_b128 v[16:19], v64 offset:384
	ds_read_b128 v[36:39], v64 offset:400
	ds_read_b128 v[40:43], v64 offset:416
	ds_read_b128 v[44:47], v64 offset:432
	ds_read2_b64 v[80:83], v67 offset0:64 offset1:96
	ds_read2_b64 v[84:87], v67 offset0:128 offset1:160
	ds_read2_b64 v[88:91], v67 offset0:192 offset1:224
	ds_read2_b64 v[92:95], v73 offset1:32
	ds_read2_b64 v[96:99], v73 offset0:64 offset1:96
	ds_read2_b64 v[100:103], v73 offset0:128 offset1:160
	ds_read2_b64 v[104:107], v73 offset0:192 offset1:224
	ds_read2_b64 v[108:111], v74 offset1:32
	;; [unrolled: 4-line block ×5, first 2 shown]
	ds_read_b128 v[160:163], v64 offset:448
	ds_read_b128 v[164:167], v64 offset:464
	ds_read2_b64 v[168:171], v77 offset0:64 offset1:96
	ds_read2_b64 v[172:175], v77 offset0:128 offset1:160
	;; [unrolled: 1-line block ×3, first 2 shown]
	ds_read2_b64 v[180:183], v78 offset1:32
	ds_read2_b64 v[184:187], v78 offset0:64 offset1:96
	ds_read2_b64 v[188:191], v78 offset0:128 offset1:160
	;; [unrolled: 1-line block ×3, first 2 shown]
	ds_read2_b64 v[196:199], v79 offset1:32
	ds_read_b128 v[200:203], v64 offset:480
	ds_read_b128 v[0:3], v64 offset:496
	ds_read2_b64 v[204:207], v79 offset0:64 offset1:96
	ds_read2_b64 v[8:11], v79 offset0:128 offset1:160
	;; [unrolled: 1-line block ×3, first 2 shown]
	s_waitcnt lgkmcnt(14)
	v_pk_fma_f16 v50, v12, v16, v50 op_sel_hi:[1,0,1]
	v_pk_fma_f16 v12, v12, v16, v51 op_sel:[0,1,0]
	v_pk_fma_f16 v51, v13, v16, v208 op_sel_hi:[1,0,1]
	v_pk_fma_f16 v13, v13, v16, v209 op_sel:[0,1,0]
	;; [unrolled: 2-line block ×80, first 2 shown]
	s_waitcnt lgkmcnt(13)
	v_pk_fma_f16 v16, v156, v164, v16 op_sel_hi:[1,0,1]
	v_pk_fma_f16 v12, v156, v164, v12 op_sel:[0,1,0]
	v_pk_fma_f16 v17, v157, v164, v17 op_sel_hi:[1,0,1]
	v_pk_fma_f16 v13, v157, v164, v13 op_sel:[0,1,0]
	v_pk_fma_f16 v18, v158, v164, v18 op_sel_hi:[1,0,1]
	v_pk_fma_f16 v14, v158, v164, v14 op_sel:[0,1,0]
	v_pk_fma_f16 v19, v159, v164, v19 op_sel_hi:[1,0,1]
	v_pk_fma_f16 v15, v159, v164, v15 op_sel:[0,1,0]
	s_waitcnt lgkmcnt(12)
	v_pk_fma_f16 v16, v168, v165, v16 op_sel_hi:[1,0,1]
	v_pk_fma_f16 v12, v168, v165, v12 op_sel:[0,1,0]
	v_pk_fma_f16 v17, v169, v165, v17 op_sel_hi:[1,0,1]
	v_pk_fma_f16 v13, v169, v165, v13 op_sel:[0,1,0]
	v_pk_fma_f16 v18, v170, v165, v18 op_sel_hi:[1,0,1]
	v_pk_fma_f16 v14, v170, v165, v14 op_sel:[0,1,0]
	v_pk_fma_f16 v19, v171, v165, v19 op_sel_hi:[1,0,1]
	v_pk_fma_f16 v15, v171, v165, v15 op_sel:[0,1,0]
	;; [unrolled: 9-line block ×4, first 2 shown]
	s_waitcnt lgkmcnt(0)
	s_barrier
	s_load_dword s0, s[22:23], 0x4
	v_pk_fma_f16 v16, v180, v200, v16 op_sel_hi:[1,0,1]
	v_pk_fma_f16 v12, v180, v200, v12 op_sel:[0,1,0]
	v_pk_fma_f16 v17, v181, v200, v17 op_sel_hi:[1,0,1]
	v_pk_fma_f16 v13, v181, v200, v13 op_sel:[0,1,0]
	;; [unrolled: 2-line block ×20, first 2 shown]
	s_waitcnt lgkmcnt(0)
	s_lshl_b32 s0, s0, 7
	v_pk_fma_f16 v15, v204, v1, v16 op_sel_hi:[1,0,1]
	v_pk_fma_f16 v12, v204, v1, v12 op_sel:[0,1,0]
	v_pk_fma_f16 v16, v205, v1, v17 op_sel_hi:[1,0,1]
	v_pk_fma_f16 v13, v205, v1, v13 op_sel:[0,1,0]
	;; [unrolled: 2-line block ×4, first 2 shown]
	s_add_i32 s26, s0, s26
	v_pk_fma_f16 v1, v8, v2, v15 op_sel_hi:[1,0,1]
	v_pk_fma_f16 v8, v8, v2, v12 op_sel:[0,1,0]
	v_pk_fma_f16 v12, v9, v2, v16 op_sel_hi:[1,0,1]
	v_pk_fma_f16 v9, v9, v2, v13 op_sel:[0,1,0]
	;; [unrolled: 2-line block ×4, first 2 shown]
	v_mov_b32_e32 v34, v48
	v_mov_b32_e32 v35, v49
	s_cmp_ge_i32 s26, s34
	v_pk_fma_f16 v85, v4, v3, v1 op_sel_hi:[1,0,1]
	v_pk_fma_f16 v81, v4, v3, v8 op_sel:[0,1,0]
	v_pk_fma_f16 v84, v5, v3, v12 op_sel_hi:[1,0,1]
	v_pk_fma_f16 v83, v5, v3, v9 op_sel:[0,1,0]
	;; [unrolled: 2-line block ×4, first 2 shown]
	s_cbranch_scc0 .LBB0_13
.LBB0_14:
	v_cmp_lt_i32_e32 vcc, v59, v54
	v_cndmask_b32_e32 v0, v25, v59, vcc
	v_lshlrev_b32_e32 v1, 2, v0
	ds_bpermute_b32 v0, v1, v22
	ds_bpermute_b32 v1, v1, v23
	v_cmp_lt_i32_e32 vcc, v58, v54
	v_cndmask_b32_e32 v2, v25, v58, vcc
	v_lshlrev_b32_e32 v3, 2, v2
	v_cmp_lt_i32_e32 vcc, v57, v54
	s_waitcnt lgkmcnt(0)
	v_pk_add_f32 v[0:1], v[22:23], v[0:1]
	ds_bpermute_b32 v2, v3, v0
	ds_bpermute_b32 v3, v3, v1
	v_cndmask_b32_e32 v4, v25, v57, vcc
	v_lshlrev_b32_e32 v4, 2, v4
	v_cmp_lt_i32_e32 vcc, v56, v54
	s_cmp_lg_u64 s[24:25], 0
	s_waitcnt lgkmcnt(0)
	v_pk_add_f32 v[0:1], v[0:1], v[2:3]
	ds_bpermute_b32 v2, v4, v0
	ds_bpermute_b32 v3, v4, v1
	v_cndmask_b32_e32 v4, v25, v56, vcc
	v_lshlrev_b32_e32 v4, 2, v4
	v_cmp_lt_i32_e32 vcc, v55, v54
	s_cselect_b64 s[2:3], -1, 0
	s_waitcnt lgkmcnt(0)
	v_pk_add_f32 v[0:1], v[0:1], v[2:3]
	ds_bpermute_b32 v2, v4, v0
	ds_bpermute_b32 v3, v4, v1
	v_cndmask_b32_e32 v4, v25, v55, vcc
	v_lshlrev_b32_e32 v4, 2, v4
	s_cmp_eq_u32 s7, 0
	s_cselect_b64 s[8:9], -1, 0
	s_waitcnt lgkmcnt(0)
	v_pk_add_f32 v[0:1], v[0:1], v[2:3]
	ds_bpermute_b32 v2, v4, v0
	ds_bpermute_b32 v3, v4, v1
	s_and_b64 s[2:3], s[8:9], s[2:3]
	s_mov_b64 s[0:1], 0
	s_and_b64 vcc, exec, s[2:3]
	v_add_u32_e32 v4, s35, v53
	s_waitcnt lgkmcnt(0)
	v_pk_add_f32 v[0:1], v[0:1], v[2:3]
	s_cbranch_vccnz .LBB0_16
; %bb.15:
	v_add_u32_e32 v2, s35, v53
	s_andn2_b64 vcc, exec, s[0:1]
	s_cbranch_vccz .LBB0_17
	s_branch .LBB0_18
.LBB0_16:
                                        ; implicit-def: $vgpr2
.LBB0_17:
	v_ashrrev_i32_e32 v5, 31, v4
	v_lshlrev_b64 v[2:3], 2, v[4:5]
	v_mov_b32_e32 v5, s25
	v_add_co_u32_e32 v2, vcc, s24, v2
	v_addc_co_u32_e32 v3, vcc, v5, v3, vcc
	global_load_dwordx2 v[6:7], v[2:3], off
	v_max_f32_e32 v3, v49, v49
	v_max_f32_e32 v8, v48, v48
	v_mov_b32_e32 v2, v4
	s_mov_b32 s0, 0x3fb8aa3b
	s_mov_b32 s1, 0xc2ce8ed0
	;; [unrolled: 1-line block ×3, first 2 shown]
	v_mov_b32_e32 v10, 0x7f800000
	s_waitcnt vmcnt(0)
	v_max_f32_e32 v4, v7, v7
	v_max_f32_e32 v9, v6, v6
	;; [unrolled: 1-line block ×4, first 2 shown]
	v_pk_add_f32 v[8:9], v[48:49], v[4:5] neg_lo:[0,1] neg_hi:[0,1]
	v_mul_f32_e32 v3, 0x3fb8aa3b, v9
	v_pk_add_f32 v[6:7], v[6:7], v[4:5] neg_lo:[0,1] neg_hi:[0,1]
	v_mul_f32_e32 v11, 0x3fb8aa3b, v8
	v_fma_f32 v14, v9, s0, -v3
	v_rndne_f32_e32 v15, v3
	v_mul_f32_e32 v12, 0x3fb8aa3b, v7
	v_fma_f32 v16, v8, s0, -v11
	v_rndne_f32_e32 v17, v11
	v_fmac_f32_e32 v14, 0x32a5705f, v9
	v_sub_f32_e32 v3, v3, v15
	v_mul_f32_e32 v13, 0x3fb8aa3b, v6
	v_fma_f32 v18, v7, s0, -v12
	v_rndne_f32_e32 v19, v12
	v_fmac_f32_e32 v16, 0x32a5705f, v8
	v_sub_f32_e32 v11, v11, v17
	v_add_f32_e32 v3, v3, v14
	v_fma_f32 v22, v6, s0, -v13
	v_rndne_f32_e32 v23, v13
	v_cvt_i32_f32_e32 v15, v15
	v_fmac_f32_e32 v18, 0x32a5705f, v7
	v_sub_f32_e32 v12, v12, v19
	v_add_f32_e32 v11, v11, v16
	v_exp_f32_e32 v3, v3
	v_cvt_i32_f32_e32 v17, v17
	v_fmac_f32_e32 v22, 0x32a5705f, v6
	v_sub_f32_e32 v13, v13, v23
	v_add_f32_e32 v12, v12, v18
	v_exp_f32_e32 v11, v11
	v_cvt_i32_f32_e32 v19, v19
	v_add_f32_e32 v13, v13, v22
	v_exp_f32_e32 v12, v12
	v_cvt_i32_f32_e32 v23, v23
	v_exp_f32_e32 v13, v13
	v_ldexp_f32 v3, v3, v15
	v_cmp_ngt_f32_e32 vcc, s1, v9
	v_ldexp_f32 v11, v11, v17
	v_cndmask_b32_e32 v3, 0, v3, vcc
	v_cmp_ngt_f32_e32 vcc, s1, v8
	v_ldexp_f32 v12, v12, v19
	v_cndmask_b32_e32 v11, 0, v11, vcc
	;; [unrolled: 3-line block ×3, first 2 shown]
	v_cmp_ngt_f32_e32 vcc, s1, v6
	v_cndmask_b32_e32 v13, 0, v13, vcc
	v_cmp_nlt_f32_e32 vcc, s2, v9
	v_cndmask_b32_e32 v9, v10, v3, vcc
	v_cmp_nlt_f32_e32 vcc, s2, v8
	v_cndmask_b32_e32 v8, v10, v11, vcc
	v_cmp_nlt_f32_e32 vcc, s2, v7
	v_cndmask_b32_e32 v7, v10, v12, vcc
	v_cmp_nlt_f32_e32 vcc, s2, v6
	v_cndmask_b32_e32 v6, v10, v13, vcc
	v_cvt_f16_f32_e32 v3, v8
	v_pk_fma_f32 v[0:1], v[0:1], v[8:9], v[6:7]
	v_cvt_f16_f32_e32 v6, v9
	v_pk_mov_b32 v[48:49], v[4:5], v[4:5] op_sel:[0,1]
	v_pk_mul_f16 v85, v3, v85 op_sel_hi:[0,1]
	v_pk_mul_f16 v84, v3, v84 op_sel_hi:[0,1]
	v_pk_mul_f16 v87, v3, v87 op_sel_hi:[0,1]
	v_pk_mul_f16 v86, v3, v86 op_sel_hi:[0,1]
	v_pk_mul_f16 v81, v6, v81 op_sel_hi:[0,1]
	v_pk_mul_f16 v83, v6, v83 op_sel_hi:[0,1]
	v_pk_mul_f16 v82, v6, v82 op_sel_hi:[0,1]
	v_pk_mul_f16 v80, v6, v80 op_sel_hi:[0,1]
.LBB0_18:
	s_load_dword s6, s[4:5], 0xd4
	v_mov_b32_e32 v4, 1.0
	s_waitcnt lgkmcnt(0)
	s_cmp_lg_u32 s6, 1
	s_cselect_b64 s[0:1], -1, 0
	s_cmp_eq_u32 s6, 1
	s_cselect_b64 s[2:3], -1, 0
	s_and_b64 vcc, exec, s[0:1]
	s_cbranch_vccnz .LBB0_20
; %bb.19:
	v_div_scale_f32 v3, s[4:5], v0, v0, 1.0
	v_rcp_f32_e32 v4, v3
	v_div_scale_f32 v5, vcc, 1.0, v0, 1.0
	v_fma_f32 v6, -v3, v4, 1.0
	v_fmac_f32_e32 v4, v6, v4
	v_mul_f32_e32 v6, v5, v4
	v_fma_f32 v7, -v3, v6, v5
	v_fmac_f32_e32 v6, v7, v4
	v_fma_f32 v3, -v3, v6, v5
	v_div_fmas_f32 v3, v3, v4, v6
	v_div_fixup_f32 v4, v3, v0, 1.0
.LBB0_20:
	s_mul_i32 s33, s33, s38
	v_add_u32_e32 v3, s33, v21
	v_mad_u64_u32 v[2:3], s[4:5], v3, s39, v[2:3]
	v_mul_lo_u32 v2, s6, v2
	v_add_u32_e32 v2, s7, v2
	v_cvt_f32_f16_sdwa v9, v85 dst_sel:DWORD dst_unused:UNUSED_PAD src0_sel:WORD_1
	v_cvt_f32_f16_e32 v8, v85
	v_cvt_f32_f16_sdwa v13, v84 dst_sel:DWORD dst_unused:UNUSED_PAD src0_sel:WORD_1
	v_cvt_f32_f16_e32 v12, v84
	v_lshl_add_u32 v10, v2, 8, v52
	v_mov_b32_e32 v11, 0
	v_cmp_eq_u32_e32 vcc, 0, v20
	v_lshlrev_b64 v[6:7], 2, v[10:11]
	s_and_b64 s[0:1], vcc, s[0:1]
	v_mov_b32_e32 v3, s29
	v_add_co_u32_e32 v14, vcc, s28, v6
	v_addc_co_u32_e32 v15, vcc, v3, v7, vcc
	v_pk_mul_f32 v[6:7], v[4:5], v[8:9] op_sel_hi:[0,1]
	v_pk_mul_f32 v[8:9], v[4:5], v[12:13] op_sel_hi:[0,1]
	v_add_u32_e32 v10, 0x80, v10
	global_store_dwordx4 v[14:15], v[6:9], off
	s_nop 0
	v_lshlrev_b64 v[6:7], 2, v[10:11]
	v_cvt_f32_f16_sdwa v9, v87 dst_sel:DWORD dst_unused:UNUSED_PAD src0_sel:WORD_1
	v_cvt_f32_f16_e32 v8, v87
	v_cvt_f32_f16_sdwa v11, v86 dst_sel:DWORD dst_unused:UNUSED_PAD src0_sel:WORD_1
	v_cvt_f32_f16_e32 v10, v86
	v_add_co_u32_e32 v12, vcc, s28, v6
	v_addc_co_u32_e32 v13, vcc, v3, v7, vcc
	v_pk_mul_f32 v[6:7], v[4:5], v[8:9] op_sel_hi:[0,1]
	v_pk_mul_f32 v[8:9], v[4:5], v[10:11] op_sel_hi:[0,1]
	global_store_dwordx4 v[12:13], v[6:9], off
	s_and_saveexec_b64 s[4:5], s[0:1]
	s_cbranch_execz .LBB0_22
; %bb.21:
	v_ashrrev_i32_e32 v3, 31, v2
	v_lshlrev_b64 v[4:5], 3, v[2:3]
	v_mov_b32_e32 v3, s31
	v_add_co_u32_e32 v4, vcc, s30, v4
	v_addc_co_u32_e32 v5, vcc, v3, v5, vcc
	v_mov_b32_e32 v6, v48
	v_mov_b32_e32 v7, v0
	global_store_dwordx2 v[4:5], v[6:7], off
.LBB0_22:
	s_or_b64 exec, exec, s[4:5]
	s_andn2_b64 vcc, exec, s[2:3]
	v_mov_b32_e32 v0, 1.0
	s_cbranch_vccnz .LBB0_24
; %bb.23:
	v_div_scale_f32 v0, s[2:3], v1, v1, 1.0
	v_rcp_f32_e32 v3, v0
	v_div_scale_f32 v4, vcc, 1.0, v1, 1.0
	v_fma_f32 v5, -v0, v3, 1.0
	v_fmac_f32_e32 v3, v5, v3
	v_mul_f32_e32 v5, v4, v3
	v_fma_f32 v6, -v0, v5, v4
	v_fmac_f32_e32 v5, v6, v3
	v_fma_f32 v0, -v0, v5, v4
	v_div_fmas_f32 v0, v0, v3, v5
	v_div_fixup_f32 v0, v0, v1, 1.0
.LBB0_24:
	v_add_u32_e32 v2, s6, v2
	v_cvt_f32_f16_sdwa v7, v81 dst_sel:DWORD dst_unused:UNUSED_PAD src0_sel:WORD_1
	v_cvt_f32_f16_e32 v6, v81
	v_cvt_f32_f16_sdwa v11, v83 dst_sel:DWORD dst_unused:UNUSED_PAD src0_sel:WORD_1
	v_cvt_f32_f16_e32 v10, v83
	v_lshl_add_u32 v8, v2, 8, v52
	v_mov_b32_e32 v9, 0
	v_lshlrev_b64 v[4:5], 2, v[8:9]
	v_mov_b32_e32 v3, s29
	v_add_co_u32_e32 v12, vcc, s28, v4
	v_addc_co_u32_e32 v13, vcc, v3, v5, vcc
	v_pk_mul_f32 v[4:5], v[0:1], v[6:7] op_sel_hi:[0,1]
	v_pk_mul_f32 v[6:7], v[0:1], v[10:11] op_sel_hi:[0,1]
	v_add_u32_e32 v8, 0x80, v8
	global_store_dwordx4 v[12:13], v[4:7], off
	s_nop 0
	v_lshlrev_b64 v[4:5], 2, v[8:9]
	v_cvt_f32_f16_sdwa v7, v82 dst_sel:DWORD dst_unused:UNUSED_PAD src0_sel:WORD_1
	v_cvt_f32_f16_e32 v6, v82
	v_cvt_f32_f16_sdwa v9, v80 dst_sel:DWORD dst_unused:UNUSED_PAD src0_sel:WORD_1
	v_cvt_f32_f16_e32 v8, v80
	v_add_co_u32_e32 v10, vcc, s28, v4
	v_addc_co_u32_e32 v11, vcc, v3, v5, vcc
	v_pk_mul_f32 v[4:5], v[0:1], v[6:7] op_sel_hi:[0,1]
	v_pk_mul_f32 v[6:7], v[0:1], v[8:9] op_sel_hi:[0,1]
	global_store_dwordx4 v[10:11], v[4:7], off
	s_and_saveexec_b64 s[2:3], s[0:1]
	s_cbranch_execz .LBB0_26
; %bb.25:
	v_ashrrev_i32_e32 v3, 31, v2
	v_lshlrev_b64 v[2:3], 3, v[2:3]
	v_mov_b32_e32 v0, s31
	v_add_co_u32_e32 v2, vcc, s30, v2
	v_addc_co_u32_e32 v3, vcc, v0, v3, vcc
	v_mov_b32_e32 v0, v49
	global_store_dwordx2 v[2:3], v[0:1], off
.LBB0_26:
	s_endpgm
	.section	.rodata,"a",@progbits
	.p2align	6, 0x0
	.amdhsa_kernel _ZL15flash_attn_tileILi320ELi256ELi1ELi32ELb0EEvPKcS1_S1_S1_S1_PKiPfP15HIP_vector_typeIfLj2EEffffjfiS5_IjLj3EEiiiiiiiiiiiliiliiiiil
		.amdhsa_group_segment_fixed_size 47104
		.amdhsa_private_segment_fixed_size 0
		.amdhsa_kernarg_size 464
		.amdhsa_user_sgpr_count 6
		.amdhsa_user_sgpr_private_segment_buffer 1
		.amdhsa_user_sgpr_dispatch_ptr 0
		.amdhsa_user_sgpr_queue_ptr 0
		.amdhsa_user_sgpr_kernarg_segment_ptr 1
		.amdhsa_user_sgpr_dispatch_id 0
		.amdhsa_user_sgpr_flat_scratch_init 0
		.amdhsa_user_sgpr_kernarg_preload_length 0
		.amdhsa_user_sgpr_kernarg_preload_offset 0
		.amdhsa_user_sgpr_private_segment_size 0
		.amdhsa_uses_dynamic_stack 0
		.amdhsa_system_sgpr_private_segment_wavefront_offset 0
		.amdhsa_system_sgpr_workgroup_id_x 1
		.amdhsa_system_sgpr_workgroup_id_y 1
		.amdhsa_system_sgpr_workgroup_id_z 1
		.amdhsa_system_sgpr_workgroup_info 0
		.amdhsa_system_vgpr_workitem_id 1
		.amdhsa_next_free_vgpr 236
		.amdhsa_next_free_sgpr 47
		.amdhsa_accum_offset 236
		.amdhsa_reserve_vcc 1
		.amdhsa_reserve_flat_scratch 0
		.amdhsa_float_round_mode_32 0
		.amdhsa_float_round_mode_16_64 0
		.amdhsa_float_denorm_mode_32 3
		.amdhsa_float_denorm_mode_16_64 3
		.amdhsa_dx10_clamp 1
		.amdhsa_ieee_mode 1
		.amdhsa_fp16_overflow 0
		.amdhsa_tg_split 0
		.amdhsa_exception_fp_ieee_invalid_op 0
		.amdhsa_exception_fp_denorm_src 0
		.amdhsa_exception_fp_ieee_div_zero 0
		.amdhsa_exception_fp_ieee_overflow 0
		.amdhsa_exception_fp_ieee_underflow 0
		.amdhsa_exception_fp_ieee_inexact 0
		.amdhsa_exception_int_div_zero 0
	.end_amdhsa_kernel
	.section	.text._ZL15flash_attn_tileILi320ELi256ELi1ELi32ELb0EEvPKcS1_S1_S1_S1_PKiPfP15HIP_vector_typeIfLj2EEffffjfiS5_IjLj3EEiiiiiiiiiiiliiliiiiil,"axG",@progbits,_ZL15flash_attn_tileILi320ELi256ELi1ELi32ELb0EEvPKcS1_S1_S1_S1_PKiPfP15HIP_vector_typeIfLj2EEffffjfiS5_IjLj3EEiiiiiiiiiiiliiliiiiil,comdat
.Lfunc_end0:
	.size	_ZL15flash_attn_tileILi320ELi256ELi1ELi32ELb0EEvPKcS1_S1_S1_S1_PKiPfP15HIP_vector_typeIfLj2EEffffjfiS5_IjLj3EEiiiiiiiiiiiliiliiiiil, .Lfunc_end0-_ZL15flash_attn_tileILi320ELi256ELi1ELi32ELb0EEvPKcS1_S1_S1_S1_PKiPfP15HIP_vector_typeIfLj2EEffffjfiS5_IjLj3EEiiiiiiiiiiiliiliiiiil
                                        ; -- End function
	.section	.AMDGPU.csdata,"",@progbits
; Kernel info:
; codeLenInByte = 27852
; NumSgprs: 51
; NumVgprs: 236
; NumAgprs: 0
; TotalNumVgprs: 236
; ScratchSize: 0
; MemoryBound: 0
; FloatMode: 240
; IeeeMode: 1
; LDSByteSize: 47104 bytes/workgroup (compile time only)
; SGPRBlocks: 6
; VGPRBlocks: 29
; NumSGPRsForWavesPerEU: 51
; NumVGPRsForWavesPerEU: 236
; AccumOffset: 236
; Occupancy: 2
; WaveLimiterHint : 1
; COMPUTE_PGM_RSRC2:SCRATCH_EN: 0
; COMPUTE_PGM_RSRC2:USER_SGPR: 6
; COMPUTE_PGM_RSRC2:TRAP_HANDLER: 0
; COMPUTE_PGM_RSRC2:TGID_X_EN: 1
; COMPUTE_PGM_RSRC2:TGID_Y_EN: 1
; COMPUTE_PGM_RSRC2:TGID_Z_EN: 1
; COMPUTE_PGM_RSRC2:TIDIG_COMP_CNT: 1
; COMPUTE_PGM_RSRC3_GFX90A:ACCUM_OFFSET: 58
; COMPUTE_PGM_RSRC3_GFX90A:TG_SPLIT: 0
	.section	.text._ZL25flash_attn_mask_to_KV_maxILi1EEvPK7__half2Piiii,"axG",@progbits,_ZL25flash_attn_mask_to_KV_maxILi1EEvPK7__half2Piiii,comdat
	.globl	_ZL25flash_attn_mask_to_KV_maxILi1EEvPK7__half2Piiii ; -- Begin function _ZL25flash_attn_mask_to_KV_maxILi1EEvPK7__half2Piiii
	.p2align	8
	.type	_ZL25flash_attn_mask_to_KV_maxILi1EEvPK7__half2Piiii,@function
_ZL25flash_attn_mask_to_KV_maxILi1EEvPK7__half2Piiii: ; @_ZL25flash_attn_mask_to_KV_maxILi1EEvPK7__half2Piiii
; %bb.0:
	s_load_dwordx4 s[8:11], s[4:5], 0x0
	v_cmp_gt_u32_e32 vcc, 32, v0
	s_and_saveexec_b64 s[0:1], vcc
	s_cbranch_execz .LBB1_2
; %bb.1:
	v_lshlrev_b32_e32 v1, 2, v0
	v_mov_b32_e32 v2, 1
	ds_write_b32 v1, v2
.LBB1_2:
	s_or_b64 exec, exec, s[0:1]
	s_load_dwordx4 s[0:3], s[4:5], 0x10
	s_load_dword s12, s[4:5], 0x20
	v_and_b32_e32 v2, 31, v0
	v_cmp_eq_u32_e32 vcc, 0, v2
	v_lshlrev_b32_e32 v4, 2, v2
	s_waitcnt lgkmcnt(0)
	s_mul_i32 s2, s7, s2
	s_mul_i32 s1, s6, s1
	s_add_i32 s2, s2, s1
	s_ashr_i32 s3, s2, 31
	v_mbcnt_lo_u32_b32 v2, -1, 0
	s_lshl_b64 s[2:3], s[2:3], 2
	v_mbcnt_hi_u32_b32 v5, -1, v2
	s_add_u32 s13, s8, s2
	v_and_b32_e32 v2, 0x60, v5
	s_addc_u32 s14, s9, s3
	s_lshl_b32 s15, s0, 8
	v_lshrrev_b32_e32 v1, 3, v0
	s_mov_b64 s[4:5], 0
	v_mov_b32_e32 v3, 0
	s_movk_i32 s16, 0x204
	s_movk_i32 s17, 0x7fff
	;; [unrolled: 1-line block ×3, first 2 shown]
	v_add_u32_e32 v6, 32, v2
	v_xor_b32_e32 v7, 16, v5
	v_xor_b32_e32 v8, 8, v5
	v_xor_b32_e32 v9, 4, v5
	v_xor_b32_e32 v10, 2, v5
	v_xor_b32_e32 v11, 1, v5
	s_barrier
	s_waitcnt lgkmcnt(0)
                                        ; implicit-def: $sgpr0_sgpr1
	s_branch .LBB1_5
.LBB1_3:                                ;   in Loop: Header=BB1_5 Depth=1
	s_or_b64 exec, exec, s[2:3]
	s_waitcnt lgkmcnt(0)
	s_barrier
	ds_read_b32 v16, v4
	s_waitcnt lgkmcnt(0)
	s_barrier
	ds_bpermute_b32 v2, v2, v16
	v_cmp_ne_u32_e64 s[0:1], 0, v16
	s_waitcnt lgkmcnt(0)
	v_cmp_ne_u32_e64 s[2:3], 0, v2
	s_and_b64 s[2:3], s[0:1], s[2:3]
	v_cndmask_b32_e64 v2, 0, 1, s[2:3]
	ds_bpermute_b32 v2, v12, v2
	s_waitcnt lgkmcnt(0)
	v_cmp_ne_u32_e64 s[0:1], 0, v2
	s_and_b64 s[2:3], s[0:1], s[2:3]
	v_cndmask_b32_e64 v2, 0, 1, s[2:3]
	ds_bpermute_b32 v2, v13, v2
	;; [unrolled: 5-line block ×4, first 2 shown]
	s_xor_b64 s[2:3], s[0:1], -1
	s_waitcnt lgkmcnt(0)
	v_cmp_eq_u32_e64 s[0:1], 0, v2
	s_or_b64 s[0:1], s[0:1], s[2:3]
.LBB1_4:                                ;   in Loop: Header=BB1_5 Depth=1
	s_and_b64 s[2:3], exec, s[0:1]
	s_or_b64 s[4:5], s[2:3], s[4:5]
	v_mov_b32_e32 v2, s15
	s_mov_b32 s15, s19
	s_andn2_b64 exec, exec, s[4:5]
	s_cbranch_execz .LBB1_8
.LBB1_5:                                ; =>This Inner Loop Header: Depth=1
	s_add_i32 s19, s15, 0xffffff00
	s_or_b64 s[0:1], s[0:1], exec
	s_cmp_lt_i32 s19, 0
	s_cbranch_scc1 .LBB1_4
; %bb.6:                                ;   in Loop: Header=BB1_5 Depth=1
	s_lshr_b32 s0, s19, 1
	v_add_u32_e32 v2, s0, v0
	v_lshlrev_b64 v[12:13], 2, v[2:3]
	v_mov_b32_e32 v2, s14
	v_add_co_u32_e64 v12, s[0:1], s13, v12
	v_addc_co_u32_e64 v13, s[0:1], v2, v13, s[0:1]
	global_load_dword v12, v[12:13], off
	v_cmp_lt_i32_e64 s[0:1], v7, v6
	v_cndmask_b32_e64 v2, v5, v7, s[0:1]
	v_lshlrev_b32_e32 v2, 2, v2
	s_waitcnt vmcnt(0)
	v_cmp_class_f16_e64 s[2:3], v12, s16
	v_and_b32_sdwa v12, s17, v12 dst_sel:DWORD dst_unused:UNUSED_PAD src0_sel:DWORD src1_sel:WORD_1
	v_cmp_eq_f16_e64 s[0:1], s18, v12
	s_and_b64 s[2:3], s[2:3], s[0:1]
	v_cndmask_b32_e64 v12, 0, 1, s[2:3]
	ds_bpermute_b32 v13, v2, v12
	v_cmp_lt_i32_e64 s[0:1], v8, v6
	v_cndmask_b32_e64 v12, v5, v8, s[0:1]
	v_lshlrev_b32_e32 v12, 2, v12
	s_waitcnt lgkmcnt(0)
	v_cmp_ne_u32_e64 s[0:1], 0, v13
	s_and_b64 s[2:3], s[2:3], s[0:1]
	v_cndmask_b32_e64 v13, 0, 1, s[2:3]
	ds_bpermute_b32 v14, v12, v13
	v_cmp_lt_i32_e64 s[0:1], v9, v6
	v_cndmask_b32_e64 v13, v5, v9, s[0:1]
	v_lshlrev_b32_e32 v13, 2, v13
	s_waitcnt lgkmcnt(0)
	v_cmp_ne_u32_e64 s[0:1], 0, v14
	;; [unrolled: 8-line block ×3, first 2 shown]
	s_and_b64 s[2:3], s[0:1], s[2:3]
	v_cndmask_b32_e64 v15, 0, 1, s[2:3]
	ds_bpermute_b32 v15, v14, v15
	v_cmp_lt_i32_e64 s[0:1], v11, v6
	v_cndmask_b32_e64 v16, v5, v11, s[0:1]
	s_waitcnt lgkmcnt(0)
	v_cmp_ne_u32_e64 s[0:1], 0, v15
	s_and_b64 s[8:9], s[0:1], s[2:3]
	v_cndmask_b32_e64 v17, 0, 1, s[8:9]
	v_lshlrev_b32_e32 v15, 2, v16
	ds_bpermute_b32 v16, v15, v17
	s_and_saveexec_b64 s[2:3], vcc
	s_cbranch_execz .LBB1_3
; %bb.7:                                ;   in Loop: Header=BB1_5 Depth=1
	s_waitcnt lgkmcnt(0)
	v_cmp_ne_u32_e64 s[0:1], 0, v16
	s_and_b64 s[0:1], s[0:1], s[8:9]
	v_cndmask_b32_e64 v16, 0, 1, s[0:1]
	ds_write_b32 v1, v16
	s_branch .LBB1_3
.LBB1_8:
	s_or_b64 exec, exec, s[4:5]
	v_cmp_eq_u32_e32 vcc, 0, v0
	s_and_saveexec_b64 s[0:1], vcc
	s_cbranch_execz .LBB1_10
; %bb.9:
	s_mul_i32 s0, s12, s7
	s_add_i32 s0, s0, s6
	s_ashr_i32 s1, s0, 31
	s_lshl_b64 s[0:1], s[0:1], 2
	s_add_u32 s0, s10, s0
	s_addc_u32 s1, s11, s1
	v_mov_b32_e32 v0, 0
	global_store_dword v0, v2, s[0:1]
.LBB1_10:
	s_endpgm
	.section	.rodata,"a",@progbits
	.p2align	6, 0x0
	.amdhsa_kernel _ZL25flash_attn_mask_to_KV_maxILi1EEvPK7__half2Piiii
		.amdhsa_group_segment_fixed_size 128
		.amdhsa_private_segment_fixed_size 0
		.amdhsa_kernarg_size 288
		.amdhsa_user_sgpr_count 6
		.amdhsa_user_sgpr_private_segment_buffer 1
		.amdhsa_user_sgpr_dispatch_ptr 0
		.amdhsa_user_sgpr_queue_ptr 0
		.amdhsa_user_sgpr_kernarg_segment_ptr 1
		.amdhsa_user_sgpr_dispatch_id 0
		.amdhsa_user_sgpr_flat_scratch_init 0
		.amdhsa_user_sgpr_kernarg_preload_length 0
		.amdhsa_user_sgpr_kernarg_preload_offset 0
		.amdhsa_user_sgpr_private_segment_size 0
		.amdhsa_uses_dynamic_stack 0
		.amdhsa_system_sgpr_private_segment_wavefront_offset 0
		.amdhsa_system_sgpr_workgroup_id_x 1
		.amdhsa_system_sgpr_workgroup_id_y 1
		.amdhsa_system_sgpr_workgroup_id_z 0
		.amdhsa_system_sgpr_workgroup_info 0
		.amdhsa_system_vgpr_workitem_id 0
		.amdhsa_next_free_vgpr 18
		.amdhsa_next_free_sgpr 20
		.amdhsa_accum_offset 20
		.amdhsa_reserve_vcc 1
		.amdhsa_reserve_flat_scratch 0
		.amdhsa_float_round_mode_32 0
		.amdhsa_float_round_mode_16_64 0
		.amdhsa_float_denorm_mode_32 3
		.amdhsa_float_denorm_mode_16_64 3
		.amdhsa_dx10_clamp 1
		.amdhsa_ieee_mode 1
		.amdhsa_fp16_overflow 0
		.amdhsa_tg_split 0
		.amdhsa_exception_fp_ieee_invalid_op 0
		.amdhsa_exception_fp_denorm_src 0
		.amdhsa_exception_fp_ieee_div_zero 0
		.amdhsa_exception_fp_ieee_overflow 0
		.amdhsa_exception_fp_ieee_underflow 0
		.amdhsa_exception_fp_ieee_inexact 0
		.amdhsa_exception_int_div_zero 0
	.end_amdhsa_kernel
	.section	.text._ZL25flash_attn_mask_to_KV_maxILi1EEvPK7__half2Piiii,"axG",@progbits,_ZL25flash_attn_mask_to_KV_maxILi1EEvPK7__half2Piiii,comdat
.Lfunc_end1:
	.size	_ZL25flash_attn_mask_to_KV_maxILi1EEvPK7__half2Piiii, .Lfunc_end1-_ZL25flash_attn_mask_to_KV_maxILi1EEvPK7__half2Piiii
                                        ; -- End function
	.section	.AMDGPU.csdata,"",@progbits
; Kernel info:
; codeLenInByte = 844
; NumSgprs: 24
; NumVgprs: 18
; NumAgprs: 0
; TotalNumVgprs: 18
; ScratchSize: 0
; MemoryBound: 0
; FloatMode: 240
; IeeeMode: 1
; LDSByteSize: 128 bytes/workgroup (compile time only)
; SGPRBlocks: 2
; VGPRBlocks: 2
; NumSGPRsForWavesPerEU: 24
; NumVGPRsForWavesPerEU: 18
; AccumOffset: 20
; Occupancy: 8
; WaveLimiterHint : 0
; COMPUTE_PGM_RSRC2:SCRATCH_EN: 0
; COMPUTE_PGM_RSRC2:USER_SGPR: 6
; COMPUTE_PGM_RSRC2:TRAP_HANDLER: 0
; COMPUTE_PGM_RSRC2:TGID_X_EN: 1
; COMPUTE_PGM_RSRC2:TGID_Y_EN: 1
; COMPUTE_PGM_RSRC2:TGID_Z_EN: 0
; COMPUTE_PGM_RSRC2:TIDIG_COMP_CNT: 0
; COMPUTE_PGM_RSRC3_GFX90A:ACCUM_OFFSET: 4
; COMPUTE_PGM_RSRC3_GFX90A:TG_SPLIT: 0
	.section	.text._ZL33flash_attn_stream_k_fixup_uniformILi256ELi1ELi32EEvPfPK15HIP_vector_typeIfLj2EEiiiiiiS1_IjLj3EES5_S5_,"axG",@progbits,_ZL33flash_attn_stream_k_fixup_uniformILi256ELi1ELi32EEvPfPK15HIP_vector_typeIfLj2EEiiiiiiS1_IjLj3EES5_S5_,comdat
	.globl	_ZL33flash_attn_stream_k_fixup_uniformILi256ELi1ELi32EEvPfPK15HIP_vector_typeIfLj2EEiiiiiiS1_IjLj3EES5_S5_ ; -- Begin function _ZL33flash_attn_stream_k_fixup_uniformILi256ELi1ELi32EEvPfPK15HIP_vector_typeIfLj2EEiiiiiiS1_IjLj3EES5_S5_
	.p2align	8
	.type	_ZL33flash_attn_stream_k_fixup_uniformILi256ELi1ELi32EEvPfPK15HIP_vector_typeIfLj2EEiiiiiiS1_IjLj3EES5_S5_,@function
_ZL33flash_attn_stream_k_fixup_uniformILi256ELi1ELi32EEvPfPK15HIP_vector_typeIfLj2EEiiiiiiS1_IjLj3EES5_S5_: ; @_ZL33flash_attn_stream_k_fixup_uniformILi256ELi1ELi32EEvPfPK15HIP_vector_typeIfLj2EEiiiiiiS1_IjLj3EES5_S5_
; %bb.0:
	s_load_dwordx8 s[12:19], s[4:5], 0x1c
	s_load_dwordx2 s[10:11], s[4:5], 0x10
	s_load_dwordx4 s[0:3], s[4:5], 0x3c
	s_waitcnt lgkmcnt(0)
	s_mul_hi_u32 s9, s15, s6
	s_add_i32 s9, s6, s9
	s_lshr_b32 s9, s9, s16
	s_mul_i32 s15, s9, s17
	s_sub_i32 s16, s6, s15
	s_mul_hi_u32 s15, s16, s18
	s_add_i32 s15, s16, s15
	s_lshr_b32 s15, s15, s19
	s_mul_i32 s0, s15, s0
	s_sub_i32 s0, s16, s0
	;; [unrolled: 5-line block ×3, first 2 shown]
	s_lshl_b32 s17, s1, 5
	s_add_i32 s16, s16, s7
	s_cmp_lt_i32 s16, s10
	s_cselect_b64 s[0:1], -1, 0
	s_add_i32 s17, s17, s8
	s_cmp_lt_i32 s17, s13
	s_cselect_b64 s[2:3], -1, 0
	s_and_b64 s[0:1], s[0:1], s[2:3]
	s_andn2_b64 vcc, exec, s[0:1]
	s_cbranch_vccnz .LBB2_6
; %bb.1:
	s_mul_i32 s9, s9, s10
	s_load_dwordx4 s[0:3], s[4:5], 0x0
	s_mul_i32 s15, s15, s13
	s_add_i32 s4, s16, s9
	s_mul_i32 s4, s4, s11
	s_add_i32 s5, s17, s15
	s_add_i32 s5, s5, s4
	v_lshl_or_b32 v2, s5, 8, v0
	v_ashrrev_i32_e32 v3, 31, v2
	v_lshlrev_b64 v[2:3], 2, v[2:3]
	s_waitcnt lgkmcnt(0)
	v_mov_b32_e32 v1, s1
	v_add_co_u32_e32 v2, vcc, s0, v2
	v_addc_co_u32_e32 v3, vcc, v1, v3, vcc
	global_load_dword v8, v[2:3], off
	s_mul_i32 s9, s6, s14
	s_add_i32 s4, s9, s14
	s_add_i32 s0, s7, s4
	s_lshl_b32 s0, s0, 5
	s_add_i32 s0, s0, s8
	s_sub_i32 s0, s0, 32
	s_ashr_i32 s1, s0, 31
	s_lshl_b64 s[0:1], s[0:1], 3
	s_add_u32 s0, s2, s0
	s_addc_u32 s1, s3, s1
	s_load_dword s5, s[0:1], 0x4
	s_add_i32 s10, s4, -2
	s_cmp_lt_i32 s10, s9
	s_cbranch_scc1 .LBB2_4
; %bb.2:
	s_lshl_b32 s10, s12, 7
	s_ashr_i32 s11, s10, 31
	s_lshl_b64 s[10:11], s[10:11], 2
	s_add_u32 s10, s2, s10
	s_addc_u32 s13, s3, s11
	s_load_dword s0, s[0:1], 0x0
	s_add_i32 s6, s6, 1
	s_lshl_b32 s1, s8, 8
	s_add_i32 s12, s7, s12
	s_mul_i32 s6, s14, s6
	s_lshl_b32 s7, s7, 13
	s_add_i32 s12, s12, s4
	s_lshl_b32 s6, s6, 13
	s_add_i32 s1, s1, s7
	s_add_i32 s11, s4, -1
	s_lshl_b32 s4, s12, 5
	s_add_i32 s1, s1, s6
	s_add_i32 s8, s8, s4
	v_or_b32_e32 v0, s1, v0
	s_sub_i32 s4, s8, 64
	v_add_u32_e32 v0, 0xffffc000, v0
	s_waitcnt lgkmcnt(0)
	v_mov_b32_e32 v7, s5
	v_mov_b32_e32 v6, s0
	;; [unrolled: 1-line block ×3, first 2 shown]
	s_mov_b32 s6, 0x3fb8aa3b
	s_mov_b32 s7, 0xc2ce8ed0
	;; [unrolled: 1-line block ×3, first 2 shown]
	v_mov_b32_e32 v5, 0x7f800000
	s_mov_b32 s12, 0xc1a00000
.LBB2_3:                                ; =>This Inner Loop Header: Depth=1
	v_ashrrev_i32_e32 v1, 31, v0
	v_lshlrev_b64 v[10:11], 2, v[0:1]
	v_add_co_u32_e32 v10, vcc, s10, v10
	v_addc_co_u32_e32 v11, vcc, v4, v11, vcc
	global_load_dword v1, v[10:11], off
	s_ashr_i32 s5, s4, 31
	s_lshl_b64 s[0:1], s[4:5], 3
	s_add_u32 s0, s2, s0
	s_addc_u32 s1, s3, s1
	s_load_dwordx2 s[14:15], s[0:1], 0x0
	s_waitcnt vmcnt(1)
	v_mov_b32_e32 v9, v8
	v_max_f32_e32 v8, v6, v6
	v_mov_b32_e32 v10, v7
	s_add_i32 s11, s11, -1
	s_waitcnt lgkmcnt(0)
	v_max_f32_e64 v7, s14, s14
	v_max_f32_e32 v7, v8, v7
	v_sub_f32_e32 v11, s14, v7
	v_sub_f32_e32 v8, v6, v7
	v_mul_f32_e32 v12, 0x3fb8aa3b, v11
	v_mov_b32_e32 v6, v7
	v_mul_f32_e32 v7, 0x3fb8aa3b, v8
	v_fma_f32 v15, v11, s6, -v12
	v_rndne_f32_e32 v16, v12
	v_fma_f32 v13, v8, s6, -v7
	v_rndne_f32_e32 v14, v7
	v_fmac_f32_e32 v15, 0x32a5705f, v11
	v_sub_f32_e32 v12, v12, v16
	v_fmac_f32_e32 v13, 0x32a5705f, v8
	v_sub_f32_e32 v7, v7, v14
	v_add_f32_e32 v12, v12, v15
	v_cvt_i32_f32_e32 v16, v16
	v_add_f32_e32 v7, v7, v13
	v_exp_f32_e32 v12, v12
	v_cvt_i32_f32_e32 v14, v14
	v_exp_f32_e32 v7, v7
	v_cmp_ngt_f32_e32 vcc, s7, v11
	v_ldexp_f32 v12, v12, v16
	v_cmp_ngt_f32_e64 s[0:1], s7, v8
	v_ldexp_f32 v7, v7, v14
	v_cndmask_b32_e32 v12, 0, v12, vcc
	v_cmp_nlt_f32_e32 vcc, s8, v11
	v_cndmask_b32_e64 v7, 0, v7, s[0:1]
	v_cmp_nlt_f32_e64 s[0:1], s8, v8
	v_cndmask_b32_e32 v12, v5, v12, vcc
	v_cmp_le_f32_e32 vcc, s12, v11
	v_cndmask_b32_e64 v7, v5, v7, s[0:1]
	v_cmp_le_f32_e64 s[0:1], s12, v8
	v_cndmask_b32_e32 v8, 0, v12, vcc
	s_sub_i32 s4, s4, 32
	v_cndmask_b32_e64 v11, 0, v7, s[0:1]
	v_mul_f32_e32 v7, s15, v8
	v_add_u32_e32 v0, 0xffffe000, v0
	s_cmp_le_i32 s11, s9
	v_fmac_f32_e32 v7, v10, v11
	s_waitcnt vmcnt(0)
	v_mul_f32_e32 v8, v1, v8
	v_fmac_f32_e32 v8, v9, v11
	s_cbranch_scc0 .LBB2_3
	s_branch .LBB2_5
.LBB2_4:
	s_waitcnt lgkmcnt(0)
	v_mov_b32_e32 v7, s5
.LBB2_5:
	s_waitcnt vmcnt(0)
	v_div_scale_f32 v0, s[0:1], v7, v7, v8
	v_rcp_f32_e32 v1, v0
	v_div_scale_f32 v4, vcc, v8, v7, v8
	v_fma_f32 v5, -v0, v1, 1.0
	v_fmac_f32_e32 v1, v5, v1
	v_mul_f32_e32 v5, v4, v1
	v_fma_f32 v6, -v0, v5, v4
	v_fmac_f32_e32 v5, v6, v1
	v_fma_f32 v0, -v0, v5, v4
	v_div_fmas_f32 v0, v0, v1, v5
	v_div_fixup_f32 v0, v0, v7, v8
	global_store_dword v[2:3], v0, off
.LBB2_6:
	s_endpgm
	.section	.rodata,"a",@progbits
	.p2align	6, 0x0
	.amdhsa_kernel _ZL33flash_attn_stream_k_fixup_uniformILi256ELi1ELi32EEvPfPK15HIP_vector_typeIfLj2EEiiiiiiS1_IjLj3EES5_S5_
		.amdhsa_group_segment_fixed_size 0
		.amdhsa_private_segment_fixed_size 0
		.amdhsa_kernarg_size 76
		.amdhsa_user_sgpr_count 6
		.amdhsa_user_sgpr_private_segment_buffer 1
		.amdhsa_user_sgpr_dispatch_ptr 0
		.amdhsa_user_sgpr_queue_ptr 0
		.amdhsa_user_sgpr_kernarg_segment_ptr 1
		.amdhsa_user_sgpr_dispatch_id 0
		.amdhsa_user_sgpr_flat_scratch_init 0
		.amdhsa_user_sgpr_kernarg_preload_length 0
		.amdhsa_user_sgpr_kernarg_preload_offset 0
		.amdhsa_user_sgpr_private_segment_size 0
		.amdhsa_uses_dynamic_stack 0
		.amdhsa_system_sgpr_private_segment_wavefront_offset 0
		.amdhsa_system_sgpr_workgroup_id_x 1
		.amdhsa_system_sgpr_workgroup_id_y 1
		.amdhsa_system_sgpr_workgroup_id_z 1
		.amdhsa_system_sgpr_workgroup_info 0
		.amdhsa_system_vgpr_workitem_id 0
		.amdhsa_next_free_vgpr 17
		.amdhsa_next_free_sgpr 20
		.amdhsa_accum_offset 20
		.amdhsa_reserve_vcc 1
		.amdhsa_reserve_flat_scratch 0
		.amdhsa_float_round_mode_32 0
		.amdhsa_float_round_mode_16_64 0
		.amdhsa_float_denorm_mode_32 3
		.amdhsa_float_denorm_mode_16_64 3
		.amdhsa_dx10_clamp 1
		.amdhsa_ieee_mode 1
		.amdhsa_fp16_overflow 0
		.amdhsa_tg_split 0
		.amdhsa_exception_fp_ieee_invalid_op 0
		.amdhsa_exception_fp_denorm_src 0
		.amdhsa_exception_fp_ieee_div_zero 0
		.amdhsa_exception_fp_ieee_overflow 0
		.amdhsa_exception_fp_ieee_underflow 0
		.amdhsa_exception_fp_ieee_inexact 0
		.amdhsa_exception_int_div_zero 0
	.end_amdhsa_kernel
	.section	.text._ZL33flash_attn_stream_k_fixup_uniformILi256ELi1ELi32EEvPfPK15HIP_vector_typeIfLj2EEiiiiiiS1_IjLj3EES5_S5_,"axG",@progbits,_ZL33flash_attn_stream_k_fixup_uniformILi256ELi1ELi32EEvPfPK15HIP_vector_typeIfLj2EEiiiiiiS1_IjLj3EES5_S5_,comdat
.Lfunc_end2:
	.size	_ZL33flash_attn_stream_k_fixup_uniformILi256ELi1ELi32EEvPfPK15HIP_vector_typeIfLj2EEiiiiiiS1_IjLj3EES5_S5_, .Lfunc_end2-_ZL33flash_attn_stream_k_fixup_uniformILi256ELi1ELi32EEvPfPK15HIP_vector_typeIfLj2EEiiiiiiS1_IjLj3EES5_S5_
                                        ; -- End function
	.section	.AMDGPU.csdata,"",@progbits
; Kernel info:
; codeLenInByte = 828
; NumSgprs: 24
; NumVgprs: 17
; NumAgprs: 0
; TotalNumVgprs: 17
; ScratchSize: 0
; MemoryBound: 0
; FloatMode: 240
; IeeeMode: 1
; LDSByteSize: 0 bytes/workgroup (compile time only)
; SGPRBlocks: 2
; VGPRBlocks: 2
; NumSGPRsForWavesPerEU: 24
; NumVGPRsForWavesPerEU: 17
; AccumOffset: 20
; Occupancy: 8
; WaveLimiterHint : 0
; COMPUTE_PGM_RSRC2:SCRATCH_EN: 0
; COMPUTE_PGM_RSRC2:USER_SGPR: 6
; COMPUTE_PGM_RSRC2:TRAP_HANDLER: 0
; COMPUTE_PGM_RSRC2:TGID_X_EN: 1
; COMPUTE_PGM_RSRC2:TGID_Y_EN: 1
; COMPUTE_PGM_RSRC2:TGID_Z_EN: 1
; COMPUTE_PGM_RSRC2:TIDIG_COMP_CNT: 0
; COMPUTE_PGM_RSRC3_GFX90A:ACCUM_OFFSET: 4
; COMPUTE_PGM_RSRC3_GFX90A:TG_SPLIT: 0
	.section	.text._ZL33flash_attn_stream_k_fixup_generalILi256ELi1ELi32EEvPfPK15HIP_vector_typeIfLj2EEiiiiS1_IjLj3EES5_S5_S5_,"axG",@progbits,_ZL33flash_attn_stream_k_fixup_generalILi256ELi1ELi32EEvPfPK15HIP_vector_typeIfLj2EEiiiiS1_IjLj3EES5_S5_S5_,comdat
	.globl	_ZL33flash_attn_stream_k_fixup_generalILi256ELi1ELi32EEvPfPK15HIP_vector_typeIfLj2EEiiiiS1_IjLj3EES5_S5_S5_ ; -- Begin function _ZL33flash_attn_stream_k_fixup_generalILi256ELi1ELi32EEvPfPK15HIP_vector_typeIfLj2EEiiiiS1_IjLj3EES5_S5_S5_
	.p2align	8
	.type	_ZL33flash_attn_stream_k_fixup_generalILi256ELi1ELi32EEvPfPK15HIP_vector_typeIfLj2EEiiiiS1_IjLj3EES5_S5_S5_,@function
_ZL33flash_attn_stream_k_fixup_generalILi256ELi1ELi32EEvPfPK15HIP_vector_typeIfLj2EEiiiiS1_IjLj3EES5_S5_S5_: ; @_ZL33flash_attn_stream_k_fixup_generalILi256ELi1ELi32EEvPfPK15HIP_vector_typeIfLj2EEiiiiS1_IjLj3EES5_S5_S5_
; %bb.0:
	s_load_dwordx4 s[12:15], s[4:5], 0x10
	s_load_dword s9, s[4:5], 0x50
	s_mov_b32 s2, 0
	s_waitcnt lgkmcnt(0)
	s_mul_hi_i32 s3, s15, s6
	s_cmp_lg_u64 s[2:3], 0
	s_mul_i32 s2, s15, s6
	s_cbranch_scc0 .LBB3_21
; %bb.1:
	v_cvt_f32_u32_e32 v1, s9
	v_cvt_f32_ubyte0_e32 v2, 0
	s_sub_u32 s10, 0, s9
	s_subb_u32 s11, 0, 0
	v_madmk_f32 v1, v2, 0x4f800000, v1
	v_rcp_f32_e32 v1, v1
	v_mul_f32_e32 v1, 0x5f7ffffc, v1
	v_mul_f32_e32 v2, 0x2f800000, v1
	v_trunc_f32_e32 v2, v2
	v_madmk_f32 v1, v2, 0xcf800000, v1
	v_cvt_u32_f32_e32 v2, v2
	v_cvt_u32_f32_e32 v1, v1
	v_readfirstlane_b32 s16, v2
	v_readfirstlane_b32 s17, v1
	s_mul_i32 s18, s10, s16
	s_mul_hi_u32 s20, s10, s17
	s_mul_i32 s19, s11, s17
	s_add_i32 s18, s20, s18
	s_add_i32 s18, s18, s19
	s_mul_i32 s21, s10, s17
	s_mul_hi_u32 s19, s17, s18
	s_mul_i32 s20, s17, s18
	s_mul_hi_u32 s17, s17, s21
	s_add_u32 s17, s17, s20
	s_addc_u32 s19, 0, s19
	s_mul_hi_u32 s22, s16, s21
	s_mul_i32 s21, s16, s21
	s_add_u32 s17, s17, s21
	s_mul_hi_u32 s20, s16, s18
	s_addc_u32 s17, s19, s22
	s_addc_u32 s19, s20, 0
	s_mul_i32 s18, s16, s18
	s_add_u32 s17, s17, s18
	s_addc_u32 s18, 0, s19
	v_add_co_u32_e32 v1, vcc, s17, v1
	s_cmp_lg_u64 vcc, 0
	s_addc_u32 s16, s16, s18
	v_readfirstlane_b32 s18, v1
	s_mul_i32 s17, s10, s16
	s_mul_hi_u32 s19, s10, s18
	s_add_i32 s17, s19, s17
	s_mul_i32 s11, s11, s18
	s_add_i32 s17, s17, s11
	s_mul_i32 s10, s10, s18
	s_mul_hi_u32 s19, s16, s10
	s_mul_i32 s20, s16, s10
	s_mul_i32 s22, s18, s17
	s_mul_hi_u32 s10, s18, s10
	s_mul_hi_u32 s21, s18, s17
	s_add_u32 s10, s10, s22
	s_addc_u32 s18, 0, s21
	s_add_u32 s10, s10, s20
	s_mul_hi_u32 s11, s16, s17
	s_addc_u32 s10, s18, s19
	s_addc_u32 s11, s11, 0
	s_mul_i32 s17, s16, s17
	s_add_u32 s10, s10, s17
	s_addc_u32 s11, 0, s11
	v_add_co_u32_e32 v1, vcc, s10, v1
	s_cmp_lg_u64 vcc, 0
	s_addc_u32 s18, s16, s11
	s_ashr_i32 s10, s3, 31
	s_add_u32 s16, s2, s10
	s_mov_b32 s11, s10
	s_addc_u32 s17, s3, s10
	s_xor_b64 s[16:17], s[16:17], s[10:11]
	v_readfirstlane_b32 s20, v1
	s_mul_i32 s19, s16, s18
	s_mul_hi_u32 s21, s16, s20
	s_mul_hi_u32 s3, s16, s18
	s_add_u32 s19, s21, s19
	s_addc_u32 s3, 0, s3
	s_mul_hi_u32 s22, s17, s20
	s_mul_i32 s20, s17, s20
	s_add_u32 s19, s19, s20
	s_mul_hi_u32 s21, s17, s18
	s_addc_u32 s3, s3, s22
	s_addc_u32 s19, s21, 0
	s_mul_i32 s18, s17, s18
	s_add_u32 s3, s3, s18
	s_addc_u32 s18, 0, s19
	s_add_u32 s19, s3, 1
	s_addc_u32 s20, s18, 0
	s_add_u32 s21, s3, 2
	s_mul_i32 s23, s9, s18
	s_mul_hi_u32 s24, s9, s3
	s_addc_u32 s22, s18, 0
	s_add_i32 s24, s24, s23
	s_mul_i32 s23, s9, s3
	v_mov_b32_e32 v1, s23
	v_sub_co_u32_e32 v1, vcc, s16, v1
	s_cmp_lg_u64 vcc, 0
	s_subb_u32 s16, s17, s24
	v_subrev_co_u32_e32 v2, vcc, s9, v1
	s_cmp_lg_u64 vcc, 0
	s_subb_u32 s17, s16, 0
	v_readfirstlane_b32 s23, v2
	s_cmp_ge_u32 s23, s9
	s_cselect_b32 s23, -1, 0
	s_cmp_eq_u32 s17, 0
	s_cselect_b32 s17, s23, -1
	s_cmp_lg_u32 s17, 0
	s_cselect_b32 s17, s22, s20
	v_readfirstlane_b32 s20, v1
	s_cselect_b32 s19, s21, s19
	s_cmp_ge_u32 s20, s9
	s_cselect_b32 s20, -1, 0
	s_cmp_eq_u32 s16, 0
	s_cselect_b32 s16, s20, -1
	s_cmp_lg_u32 s16, 0
	s_cselect_b32 s17, s17, s18
	s_cselect_b32 s16, s19, s3
	s_xor_b64 s[16:17], s[16:17], s[10:11]
	s_sub_u32 s20, s16, s10
	s_load_dwordx4 s[16:19], s[4:5], 0x44
	s_cbranch_execnz .LBB3_3
.LBB3_2:
	v_cvt_f32_u32_e32 v1, s9
	s_sub_i32 s0, 0, s9
	v_rcp_iflag_f32_e32 v1, v1
	v_mul_f32_e32 v1, 0x4f7ffffe, v1
	v_cvt_u32_f32_e32 v1, v1
	v_readfirstlane_b32 s1, v1
	s_mul_i32 s0, s0, s1
	s_mul_hi_u32 s0, s1, s0
	s_add_i32 s1, s1, s0
	s_mul_hi_u32 s0, s2, s1
	s_mul_i32 s3, s0, s9
	s_sub_i32 s2, s2, s3
	s_add_i32 s1, s0, 1
	s_sub_i32 s3, s2, s9
	s_cmp_ge_u32 s2, s9
	s_cselect_b32 s0, s1, s0
	s_cselect_b32 s2, s3, s2
	s_add_i32 s1, s0, 1
	s_cmp_ge_u32 s2, s9
	s_cselect_b32 s20, s1, s0
.LBB3_3:
	s_add_i32 s0, s6, 1
	s_mul_hi_i32 s3, s15, s0
	s_mov_b32 s2, 0
	s_cmp_lg_u64 s[2:3], 0
	s_mul_i32 s2, s15, s0
	s_cbranch_scc0 .LBB3_22
; %bb.4:
	v_cvt_f32_u32_e32 v1, s9
	v_cvt_f32_ubyte0_e32 v2, 0
	s_sub_u32 s10, 0, s9
	s_subb_u32 s11, 0, 0
	v_madmk_f32 v1, v2, 0x4f800000, v1
	v_rcp_f32_e32 v1, v1
	v_mul_f32_e32 v1, 0x5f7ffffc, v1
	v_mul_f32_e32 v2, 0x2f800000, v1
	v_trunc_f32_e32 v2, v2
	v_madmk_f32 v1, v2, 0xcf800000, v1
	v_cvt_u32_f32_e32 v2, v2
	v_cvt_u32_f32_e32 v1, v1
	s_waitcnt lgkmcnt(0)
	v_readfirstlane_b32 s19, v2
	v_readfirstlane_b32 s21, v1
	s_mul_i32 s22, s10, s19
	s_mul_hi_u32 s24, s10, s21
	s_mul_i32 s23, s11, s21
	s_add_i32 s22, s24, s22
	s_add_i32 s22, s22, s23
	s_mul_i32 s25, s10, s21
	s_mul_hi_u32 s23, s21, s22
	s_mul_i32 s24, s21, s22
	s_mul_hi_u32 s21, s21, s25
	s_add_u32 s21, s21, s24
	s_addc_u32 s23, 0, s23
	s_mul_hi_u32 s26, s19, s25
	s_mul_i32 s25, s19, s25
	s_add_u32 s21, s21, s25
	s_mul_hi_u32 s24, s19, s22
	s_addc_u32 s21, s23, s26
	s_addc_u32 s23, s24, 0
	s_mul_i32 s22, s19, s22
	s_add_u32 s21, s21, s22
	s_addc_u32 s22, 0, s23
	v_add_co_u32_e32 v1, vcc, s21, v1
	s_cmp_lg_u64 vcc, 0
	s_addc_u32 s19, s19, s22
	v_readfirstlane_b32 s22, v1
	s_mul_i32 s21, s10, s19
	s_mul_hi_u32 s23, s10, s22
	s_add_i32 s21, s23, s21
	s_mul_i32 s11, s11, s22
	s_add_i32 s21, s21, s11
	s_mul_i32 s10, s10, s22
	s_mul_hi_u32 s23, s19, s10
	s_mul_i32 s24, s19, s10
	s_mul_i32 s26, s22, s21
	s_mul_hi_u32 s10, s22, s10
	s_mul_hi_u32 s25, s22, s21
	s_add_u32 s10, s10, s26
	s_addc_u32 s22, 0, s25
	s_add_u32 s10, s10, s24
	s_mul_hi_u32 s11, s19, s21
	s_addc_u32 s10, s22, s23
	s_addc_u32 s11, s11, 0
	s_mul_i32 s21, s19, s21
	s_add_u32 s10, s10, s21
	s_addc_u32 s11, 0, s11
	v_add_co_u32_e32 v1, vcc, s10, v1
	s_cmp_lg_u64 vcc, 0
	s_addc_u32 s19, s19, s11
	s_ashr_i32 s10, s3, 31
	s_add_u32 s22, s2, s10
	s_mov_b32 s11, s10
	s_addc_u32 s23, s3, s10
	s_xor_b64 s[22:23], s[22:23], s[10:11]
	v_readfirstlane_b32 s21, v1
	s_mul_i32 s11, s22, s19
	s_mul_hi_u32 s24, s22, s21
	s_mul_hi_u32 s3, s22, s19
	s_add_u32 s11, s24, s11
	s_addc_u32 s3, 0, s3
	s_mul_hi_u32 s25, s23, s21
	s_mul_i32 s21, s23, s21
	s_add_u32 s11, s11, s21
	s_mul_hi_u32 s24, s23, s19
	s_addc_u32 s3, s3, s25
	s_addc_u32 s11, s24, 0
	s_mul_i32 s19, s23, s19
	s_add_u32 s3, s3, s19
	s_addc_u32 s11, 0, s11
	s_mul_i32 s11, s9, s11
	s_mul_hi_u32 s24, s9, s3
	s_add_i32 s24, s24, s11
	s_mul_i32 s11, s9, s3
	v_mov_b32_e32 v1, s11
	s_add_u32 s19, s3, 1
	s_add_u32 s21, s3, 2
	v_sub_co_u32_e32 v1, vcc, s22, v1
	s_cmp_lg_u64 vcc, 0
	s_subb_u32 s11, s23, s24
	v_subrev_co_u32_e32 v2, vcc, s9, v1
	s_cmp_lg_u64 vcc, 0
	s_subb_u32 s22, s11, 0
	v_cmp_le_u32_e32 vcc, s9, v2
	s_cmp_eq_u32 s22, 0
	v_cndmask_b32_e64 v2, 0, -1, vcc
	s_cselect_b64 vcc, -1, 0
	v_cndmask_b32_e32 v2, -1, v2, vcc
	v_mov_b32_e32 v3, s19
	v_mov_b32_e32 v4, s21
	v_cmp_ne_u32_e32 vcc, 0, v2
	v_cndmask_b32_e32 v2, v3, v4, vcc
	v_cmp_le_u32_e32 vcc, s9, v1
	s_cmp_eq_u32 s11, 0
	v_cndmask_b32_e64 v1, 0, -1, vcc
	s_cselect_b64 vcc, -1, 0
	v_cndmask_b32_e32 v1, -1, v1, vcc
	v_mov_b32_e32 v3, s3
	v_cmp_ne_u32_e32 vcc, 0, v1
	v_cndmask_b32_e32 v1, v3, v2, vcc
	v_xor_b32_e32 v1, s10, v1
	v_subrev_co_u32_e32 v2, vcc, s10, v1
	s_cbranch_execnz .LBB3_6
.LBB3_5:
	v_cvt_f32_u32_e32 v1, s9
	s_sub_i32 s0, 0, s9
	s_mov_b32 s1, 0
	v_rcp_iflag_f32_e32 v1, v1
	v_mul_f32_e32 v1, 0x4f7ffffe, v1
	v_cvt_u32_f32_e32 v1, v1
	v_readfirstlane_b32 s3, v1
	s_mul_i32 s0, s0, s3
	s_mul_hi_u32 s0, s3, s0
	s_add_i32 s3, s3, s0
	s_mul_hi_u32 s0, s2, s3
	s_mul_i32 s10, s0, s9
	s_sub_i32 s2, s2, s10
	s_add_i32 s3, s0, 1
	s_sub_i32 s10, s2, s9
	s_cmp_ge_u32 s2, s9
	s_cselect_b32 s0, s3, s0
	s_cselect_b32 s2, s10, s2
	s_add_i32 s3, s0, 1
	s_cmp_ge_u32 s2, s9
	s_cselect_b32 s0, s3, s0
	v_pk_mov_b32 v[2:3], s[0:1], s[0:1] op_sel:[0,1]
.LBB3_6:
	s_waitcnt lgkmcnt(0)
	s_mul_hi_u32 s0, s20, s16
	s_add_i32 s0, s0, s20
	v_mul_hi_u32 v1, v2, s16
	s_lshr_b32 s19, s0, s17
	v_add_u32_e32 v1, v1, v2
	s_mul_i32 s0, s19, s18
	v_lshrrev_b32_e32 v1, s17, v1
	s_cmp_eq_u32 s0, s20
	v_cmp_eq_u32_e64 s[0:1], s19, v1
	v_mul_lo_u32 v1, v1, s18
	v_cmp_eq_u32_e32 vcc, s20, v2
	s_cselect_b64 s[10:11], -1, 0
	v_cmp_ne_u32_e64 s[2:3], v1, v2
	s_and_b64 s[0:1], s[0:1], s[2:3]
	s_or_b64 s[2:3], vcc, s[10:11]
	s_or_b64 s[0:1], s[2:3], s[0:1]
	s_and_b64 vcc, exec, s[0:1]
	s_cbranch_vccnz .LBB3_24
; %bb.7:
	s_load_dwordx8 s[24:31], s[4:5], 0x20
	s_load_dword s0, s[4:5], 0x40
	s_mov_b32 s10, 0
	s_waitcnt lgkmcnt(0)
	s_mul_hi_u32 s1, s20, s24
	s_add_i32 s1, s1, s20
	s_lshr_b32 s11, s1, s25
	s_mul_i32 s1, s11, s26
	s_sub_i32 s1, s20, s1
	s_mul_hi_u32 s2, s1, s27
	s_add_i32 s2, s1, s2
	s_lshr_b32 s21, s2, s28
	s_mul_i32 s2, s21, s29
	s_sub_i32 s1, s1, s2
	;; [unrolled: 5-line block ×3, first 2 shown]
	s_mul_hi_u32 s1, s0, s16
	s_add_i32 s0, s0, s1
	s_lshr_b32 s22, s0, s17
	s_lshl_b32 s23, s2, 5
	s_add_i32 s22, s22, s7
	s_cmp_lt_i32 s22, s12
	s_cselect_b64 s[0:1], -1, 0
	s_add_i32 s23, s23, s8
	s_cmp_lt_i32 s23, s14
	s_cselect_b64 s[2:3], -1, 0
	s_and_b64 s[0:1], s[0:1], s[2:3]
	s_andn2_b64 vcc, exec, s[0:1]
	s_cbranch_vccnz .LBB3_24
; %bb.8:
	s_load_dwordx4 s[0:3], s[4:5], 0x0
	s_lshl_b32 s4, s9, 7
	s_mov_b32 s5, s10
	s_lshl_b64 s[4:5], s[4:5], 2
	s_mul_i32 s24, s21, s14
	s_waitcnt lgkmcnt(0)
	s_add_u32 s14, s2, s4
	s_mul_i32 s11, s11, s12
	s_addc_u32 s21, s3, s5
	s_add_i32 s4, s22, s11
	s_mul_i32 s4, s4, s13
	s_add_i32 s5, s23, s24
	s_add_i32 s5, s5, s4
	v_lshl_or_b32 v2, s5, 8, v0
	v_ashrrev_i32_e32 v3, 31, v2
	v_lshlrev_b64 v[2:3], 2, v[2:3]
	v_mov_b32_e32 v1, s1
	v_add_co_u32_e32 v2, vcc, s0, v2
	v_addc_co_u32_e32 v3, vcc, v1, v3, vcc
	global_load_dword v5, v[2:3], off
	v_lshl_or_b32 v4, s8, 8, v0
	v_cvt_f32_u32_e32 v0, s9
	v_cvt_f32_ubyte0_e32 v1, 0
	s_add_i32 s0, s7, s6
	s_lshl_b32 s0, s0, 5
	v_mac_f32_e32 v0, 0x4f800000, v1
	v_rcp_f32_e32 v0, v0
	v_cvt_f32_u32_e32 v1, s9
	s_add_i32 s0, s0, s8
	s_ashr_i32 s1, s0, 31
	s_lshl_b64 s[0:1], s[0:1], 3
	v_mul_f32_e32 v0, 0x5f7ffffc, v0
	v_rcp_iflag_f32_e32 v1, v1
	s_add_u32 s0, s2, s0
	v_mul_f32_e32 v9, 0x2f800000, v0
	s_addc_u32 s1, s3, s1
	v_trunc_f32_e32 v10, v9
	s_load_dwordx2 s[0:1], s[0:1], 0x0
	v_mac_f32_e32 v0, 0xcf800000, v10
	v_cvt_u32_f32_e32 v9, v0
	v_mul_f32_e32 v0, 0x4f7ffffe, v1
	v_cvt_u32_f32_e32 v10, v10
	v_cvt_u32_f32_e32 v11, v0
	s_add_i32 s13, s6, -1
	s_waitcnt lgkmcnt(0)
	v_mov_b32_e32 v6, s1
	v_mov_b32_e32 v7, s0
	;; [unrolled: 1-line block ×3, first 2 shown]
	s_mov_b32 s6, 0x3fb8aa3b
	s_mov_b32 s12, 0xc2ce8ed0
	;; [unrolled: 1-line block ×4, first 2 shown]
	v_mov_b32_e32 v12, 0x7f800000
	s_mul_hi_i32 s11, s13, s15
	s_cmp_lg_u64 s[10:11], 0
	s_mul_i32 s4, s13, s15
	s_cbranch_scc0 .LBB3_15
.LBB3_9:
	s_sub_u32 s0, 0, s9
	v_readfirstlane_b32 s5, v9
	v_readfirstlane_b32 s25, v10
	s_subb_u32 s1, 0, 0
	s_mul_hi_u32 s24, s0, s5
	s_mul_i32 s26, s0, s25
	s_mul_i32 s23, s1, s5
	s_add_i32 s24, s24, s26
	s_add_i32 s24, s24, s23
	s_mul_i32 s27, s0, s5
	s_mul_hi_u32 s23, s5, s24
	s_mul_i32 s26, s5, s24
	s_mul_hi_u32 s5, s5, s27
	s_add_u32 s5, s5, s26
	s_addc_u32 s23, 0, s23
	s_mul_hi_u32 s28, s25, s27
	s_mul_i32 s27, s25, s27
	s_add_u32 s5, s5, s27
	s_mul_hi_u32 s26, s25, s24
	s_addc_u32 s5, s23, s28
	s_addc_u32 s23, s26, 0
	s_mul_i32 s24, s25, s24
	s_add_u32 s5, s5, s24
	s_addc_u32 s23, 0, s23
	v_add_co_u32_e32 v0, vcc, s5, v9
	s_cmp_lg_u64 vcc, 0
	s_addc_u32 s5, s25, s23
	v_readfirstlane_b32 s24, v0
	s_mul_i32 s23, s0, s5
	s_mul_hi_u32 s25, s0, s24
	s_add_i32 s23, s25, s23
	s_mul_i32 s1, s1, s24
	s_add_i32 s23, s23, s1
	s_mul_i32 s0, s0, s24
	s_mul_hi_u32 s25, s5, s0
	s_mul_i32 s26, s5, s0
	s_mul_i32 s28, s24, s23
	s_mul_hi_u32 s0, s24, s0
	s_mul_hi_u32 s27, s24, s23
	s_add_u32 s0, s0, s28
	s_addc_u32 s24, 0, s27
	s_add_u32 s0, s0, s26
	s_mul_hi_u32 s1, s5, s23
	s_addc_u32 s0, s24, s25
	s_addc_u32 s1, s1, 0
	s_mul_i32 s23, s5, s23
	s_add_u32 s0, s0, s23
	s_addc_u32 s1, 0, s1
	v_add_co_u32_e32 v0, vcc, s0, v0
	s_cmp_lg_u64 vcc, 0
	s_addc_u32 s5, s5, s1
	s_ashr_i32 s0, s11, 31
	s_add_u32 s24, s4, s0
	s_mov_b32 s1, s0
	s_addc_u32 s25, s11, s0
	s_xor_b64 s[24:25], s[24:25], s[0:1]
	v_readfirstlane_b32 s23, v0
	s_mul_i32 s11, s24, s5
	s_mul_hi_u32 s26, s24, s23
	s_mul_hi_u32 s1, s24, s5
	s_add_u32 s11, s26, s11
	s_addc_u32 s1, 0, s1
	s_mul_hi_u32 s27, s25, s23
	s_mul_i32 s23, s25, s23
	s_add_u32 s11, s11, s23
	s_mul_hi_u32 s26, s25, s5
	s_addc_u32 s1, s1, s27
	s_addc_u32 s11, s26, 0
	s_mul_i32 s5, s25, s5
	s_add_u32 s1, s1, s5
	s_addc_u32 s5, 0, s11
	s_mul_i32 s5, s9, s5
	s_mul_hi_u32 s26, s9, s1
	s_add_i32 s26, s26, s5
	s_mul_i32 s5, s9, s1
	v_mov_b32_e32 v0, s5
	s_add_u32 s11, s1, 1
	s_add_u32 s23, s1, 2
	v_sub_co_u32_e32 v0, vcc, s24, v0
	s_cmp_lg_u64 vcc, 0
	s_subb_u32 s5, s25, s26
	v_subrev_co_u32_e32 v1, vcc, s9, v0
	s_cmp_lg_u64 vcc, 0
	s_subb_u32 s24, s5, 0
	v_cmp_le_u32_e32 vcc, s9, v1
	s_cmp_eq_u32 s24, 0
	v_cndmask_b32_e64 v1, 0, -1, vcc
	s_cselect_b64 vcc, -1, 0
	v_cndmask_b32_e32 v1, -1, v1, vcc
	v_mov_b32_e32 v13, s11
	v_mov_b32_e32 v14, s23
	v_cmp_ne_u32_e32 vcc, 0, v1
	v_cndmask_b32_e32 v1, v13, v14, vcc
	v_cmp_le_u32_e32 vcc, s9, v0
	s_cmp_eq_u32 s5, 0
	v_cndmask_b32_e64 v0, 0, -1, vcc
	s_cselect_b64 vcc, -1, 0
	v_cndmask_b32_e32 v0, -1, v0, vcc
	v_mov_b32_e32 v13, s1
	v_cmp_ne_u32_e32 vcc, 0, v0
	v_cndmask_b32_e32 v0, v13, v1, vcc
	v_xor_b32_e32 v0, s0, v0
	v_subrev_co_u32_e32 v0, vcc, s0, v0
	s_cbranch_execnz .LBB3_11
.LBB3_10:
	s_sub_i32 s0, 0, s9
	v_mul_lo_u32 v0, s0, v11
	v_mul_hi_u32 v0, v11, v0
	v_add_u32_e32 v0, v11, v0
	v_mul_hi_u32 v0, s4, v0
	v_mul_lo_u32 v13, v0, s9
	v_sub_u32_e32 v13, s4, v13
	v_add_u32_e32 v1, 1, v0
	v_subrev_u32_e32 v14, s9, v13
	v_cmp_le_u32_e32 vcc, s9, v13
	v_cndmask_b32_e32 v13, v13, v14, vcc
	v_cndmask_b32_e32 v0, v0, v1, vcc
	v_add_u32_e32 v1, 1, v0
	v_cmp_le_u32_e32 vcc, s9, v13
	v_cndmask_b32_e32 v0, v0, v1, vcc
.LBB3_11:
	v_cmp_ne_u32_e32 vcc, v8, v0
	s_cbranch_vccz .LBB3_14
; %bb.12:
	s_add_i32 s23, s13, s7
	s_add_i32 s0, s23, s9
	s_lshl_b32 s0, s0, 5
	v_mul_hi_u32 v1, v0, s16
	s_add_i32 s0, s0, s8
	s_mov_b32 s1, s10
	v_add_u32_e32 v1, v1, v0
	s_lshl_b64 s[0:1], s[0:1], 3
	v_lshrrev_b32_e32 v1, s17, v1
	s_add_u32 s4, s2, s0
	v_mul_lo_u32 v13, v1, s18
	s_addc_u32 s5, s3, s1
	v_cmp_eq_u32_e32 vcc, v13, v0
	v_cmp_gt_u32_e64 s[0:1], s19, v1
	s_or_b64 s[0:1], s[0:1], vcc
	s_and_b64 vcc, exec, s[0:1]
	s_cbranch_vccnz .LBB3_16
; %bb.13:
	s_add_i32 s11, s13, -1
	s_mov_b64 s[0:1], 0
	s_branch .LBB3_17
.LBB3_14:
                                        ; implicit-def: $sgpr0_sgpr1
                                        ; implicit-def: $vgpr14
                                        ; implicit-def: $vgpr1
                                        ; implicit-def: $vgpr13
                                        ; implicit-def: $sgpr11
                                        ; implicit-def: $vgpr0
	s_branch .LBB3_18
.LBB3_15:
                                        ; implicit-def: $vgpr0_vgpr1
	s_branch .LBB3_10
.LBB3_16:
	s_mov_b64 s[0:1], -1
	s_mov_b32 s11, s13
	v_mov_b32_e32 v0, v8
.LBB3_17:
	v_lshl_add_u32 v14, s23, 13, v4
	v_ashrrev_i32_e32 v15, 31, v14
	v_lshlrev_b64 v[14:15], 2, v[14:15]
	v_mov_b32_e32 v1, s21
	v_add_co_u32_e32 v14, vcc, s14, v14
	v_addc_co_u32_e32 v15, vcc, v1, v15, vcc
	global_load_dword v14, v[14:15], off
	s_load_dwordx2 s[4:5], s[4:5], 0x0
	v_max_f32_e32 v1, v7, v7
	s_waitcnt lgkmcnt(0)
	v_max_f32_e64 v13, s4, s4
	v_max_f32_e32 v1, v1, v13
	v_sub_f32_e32 v13, v7, v1
	v_sub_f32_e32 v15, s4, v1
	v_mul_f32_e32 v16, 0x3fb8aa3b, v13
	v_mul_f32_e32 v17, 0x3fb8aa3b, v15
	v_fma_f32 v18, v13, s6, -v16
	v_rndne_f32_e32 v19, v16
	v_fma_f32 v20, v15, s6, -v17
	v_rndne_f32_e32 v21, v17
	v_fmac_f32_e32 v18, 0x32a5705f, v13
	v_sub_f32_e32 v16, v16, v19
	v_fmac_f32_e32 v20, 0x32a5705f, v15
	v_sub_f32_e32 v17, v17, v21
	v_add_f32_e32 v16, v16, v18
	v_cvt_i32_f32_e32 v19, v19
	v_add_f32_e32 v17, v17, v20
	v_exp_f32_e32 v16, v16
	v_cvt_i32_f32_e32 v21, v21
	v_exp_f32_e32 v17, v17
	v_cmp_ngt_f32_e32 vcc, s12, v13
	v_ldexp_f32 v16, v16, v19
	v_cndmask_b32_e32 v16, 0, v16, vcc
	v_ldexp_f32 v17, v17, v21
	v_cmp_ngt_f32_e32 vcc, s12, v15
	v_cndmask_b32_e32 v17, 0, v17, vcc
	v_cmp_nlt_f32_e32 vcc, s20, v13
	v_cndmask_b32_e32 v16, v12, v16, vcc
	v_cmp_nlt_f32_e32 vcc, s20, v15
	v_cndmask_b32_e32 v17, v12, v17, vcc
	v_cmp_le_f32_e32 vcc, s22, v13
	v_cndmask_b32_e32 v16, 0, v16, vcc
	v_cmp_le_f32_e32 vcc, s22, v15
	v_cndmask_b32_e32 v15, 0, v17, vcc
	v_mul_f32_e32 v13, s5, v15
	v_fmac_f32_e32 v13, v6, v16
	s_waitcnt vmcnt(0)
	v_mul_f32_e32 v14, v14, v15
	v_fmac_f32_e32 v14, v5, v16
	s_cbranch_execnz .LBB3_19
.LBB3_18:
	s_add_i32 s11, s13, -1
	s_mov_b64 s[0:1], 0
	v_mov_b32_e32 v0, v8
	v_mov_b32_e32 v13, v6
	;; [unrolled: 1-line block ×3, first 2 shown]
	s_waitcnt vmcnt(0)
	v_mov_b32_e32 v14, v5
.LBB3_19:
	s_andn2_b64 vcc, exec, s[0:1]
	s_cbranch_vccz .LBB3_23
; %bb.20:
	v_mov_b32_e32 v8, v0
	s_mov_b32 s13, s11
	v_mov_b32_e32 v6, v13
	v_mov_b32_e32 v7, v1
	s_waitcnt vmcnt(0)
	v_mov_b32_e32 v5, v14
	s_mul_hi_i32 s11, s13, s15
	s_cmp_lg_u64 s[10:11], 0
	s_mul_i32 s4, s13, s15
	s_cbranch_scc1 .LBB3_9
	s_branch .LBB3_15
.LBB3_21:
                                        ; implicit-def: $sgpr20_sgpr21
	s_load_dwordx4 s[16:19], s[4:5], 0x44
	s_branch .LBB3_2
.LBB3_22:
                                        ; implicit-def: $vgpr2_vgpr3
	s_branch .LBB3_5
.LBB3_23:
	v_div_scale_f32 v0, s[0:1], v13, v13, v14
	v_rcp_f32_e32 v1, v0
	v_div_scale_f32 v4, vcc, v14, v13, v14
	s_waitcnt vmcnt(0)
	v_fma_f32 v5, -v0, v1, 1.0
	v_fmac_f32_e32 v1, v5, v1
	v_mul_f32_e32 v5, v4, v1
	v_fma_f32 v6, -v0, v5, v4
	v_fmac_f32_e32 v5, v6, v1
	v_fma_f32 v0, -v0, v5, v4
	v_div_fmas_f32 v0, v0, v1, v5
	v_div_fixup_f32 v0, v0, v13, v14
	global_store_dword v[2:3], v0, off
.LBB3_24:
	s_endpgm
	.section	.rodata,"a",@progbits
	.p2align	6, 0x0
	.amdhsa_kernel _ZL33flash_attn_stream_k_fixup_generalILi256ELi1ELi32EEvPfPK15HIP_vector_typeIfLj2EEiiiiS1_IjLj3EES5_S5_S5_
		.amdhsa_group_segment_fixed_size 0
		.amdhsa_private_segment_fixed_size 0
		.amdhsa_kernarg_size 336
		.amdhsa_user_sgpr_count 6
		.amdhsa_user_sgpr_private_segment_buffer 1
		.amdhsa_user_sgpr_dispatch_ptr 0
		.amdhsa_user_sgpr_queue_ptr 0
		.amdhsa_user_sgpr_kernarg_segment_ptr 1
		.amdhsa_user_sgpr_dispatch_id 0
		.amdhsa_user_sgpr_flat_scratch_init 0
		.amdhsa_user_sgpr_kernarg_preload_length 0
		.amdhsa_user_sgpr_kernarg_preload_offset 0
		.amdhsa_user_sgpr_private_segment_size 0
		.amdhsa_uses_dynamic_stack 0
		.amdhsa_system_sgpr_private_segment_wavefront_offset 0
		.amdhsa_system_sgpr_workgroup_id_x 1
		.amdhsa_system_sgpr_workgroup_id_y 1
		.amdhsa_system_sgpr_workgroup_id_z 1
		.amdhsa_system_sgpr_workgroup_info 0
		.amdhsa_system_vgpr_workitem_id 0
		.amdhsa_next_free_vgpr 22
		.amdhsa_next_free_sgpr 32
		.amdhsa_accum_offset 24
		.amdhsa_reserve_vcc 1
		.amdhsa_reserve_flat_scratch 0
		.amdhsa_float_round_mode_32 0
		.amdhsa_float_round_mode_16_64 0
		.amdhsa_float_denorm_mode_32 3
		.amdhsa_float_denorm_mode_16_64 3
		.amdhsa_dx10_clamp 1
		.amdhsa_ieee_mode 1
		.amdhsa_fp16_overflow 0
		.amdhsa_tg_split 0
		.amdhsa_exception_fp_ieee_invalid_op 0
		.amdhsa_exception_fp_denorm_src 0
		.amdhsa_exception_fp_ieee_div_zero 0
		.amdhsa_exception_fp_ieee_overflow 0
		.amdhsa_exception_fp_ieee_underflow 0
		.amdhsa_exception_fp_ieee_inexact 0
		.amdhsa_exception_int_div_zero 0
	.end_amdhsa_kernel
	.section	.text._ZL33flash_attn_stream_k_fixup_generalILi256ELi1ELi32EEvPfPK15HIP_vector_typeIfLj2EEiiiiS1_IjLj3EES5_S5_S5_,"axG",@progbits,_ZL33flash_attn_stream_k_fixup_generalILi256ELi1ELi32EEvPfPK15HIP_vector_typeIfLj2EEiiiiS1_IjLj3EES5_S5_S5_,comdat
.Lfunc_end3:
	.size	_ZL33flash_attn_stream_k_fixup_generalILi256ELi1ELi32EEvPfPK15HIP_vector_typeIfLj2EEiiiiS1_IjLj3EES5_S5_S5_, .Lfunc_end3-_ZL33flash_attn_stream_k_fixup_generalILi256ELi1ELi32EEvPfPK15HIP_vector_typeIfLj2EEiiiiS1_IjLj3EES5_S5_S5_
                                        ; -- End function
	.section	.AMDGPU.csdata,"",@progbits
; Kernel info:
; codeLenInByte = 2804
; NumSgprs: 36
; NumVgprs: 22
; NumAgprs: 0
; TotalNumVgprs: 22
; ScratchSize: 0
; MemoryBound: 0
; FloatMode: 240
; IeeeMode: 1
; LDSByteSize: 0 bytes/workgroup (compile time only)
; SGPRBlocks: 4
; VGPRBlocks: 2
; NumSGPRsForWavesPerEU: 36
; NumVGPRsForWavesPerEU: 22
; AccumOffset: 24
; Occupancy: 8
; WaveLimiterHint : 0
; COMPUTE_PGM_RSRC2:SCRATCH_EN: 0
; COMPUTE_PGM_RSRC2:USER_SGPR: 6
; COMPUTE_PGM_RSRC2:TRAP_HANDLER: 0
; COMPUTE_PGM_RSRC2:TGID_X_EN: 1
; COMPUTE_PGM_RSRC2:TGID_Y_EN: 1
; COMPUTE_PGM_RSRC2:TGID_Z_EN: 1
; COMPUTE_PGM_RSRC2:TIDIG_COMP_CNT: 0
; COMPUTE_PGM_RSRC3_GFX90A:ACCUM_OFFSET: 5
; COMPUTE_PGM_RSRC3_GFX90A:TG_SPLIT: 0
	.section	.text._ZL26flash_attn_combine_resultsILi256EEvPKfPK15HIP_vector_typeIfLj2EEPfi,"axG",@progbits,_ZL26flash_attn_combine_resultsILi256EEvPKfPK15HIP_vector_typeIfLj2EEPfi,comdat
	.globl	_ZL26flash_attn_combine_resultsILi256EEvPKfPK15HIP_vector_typeIfLj2EEPfi ; -- Begin function _ZL26flash_attn_combine_resultsILi256EEvPKfPK15HIP_vector_typeIfLj2EEPfi
	.p2align	8
	.type	_ZL26flash_attn_combine_resultsILi256EEvPKfPK15HIP_vector_typeIfLj2EEPfi,@function
_ZL26flash_attn_combine_resultsILi256EEvPKfPK15HIP_vector_typeIfLj2EEPfi: ; @_ZL26flash_attn_combine_resultsILi256EEvPKfPK15HIP_vector_typeIfLj2EEPfi
; %bb.0:
	s_load_dwordx2 s[10:11], s[4:5], 0x20
	s_load_dword s17, s[4:5], 0x18
	s_load_dwordx4 s[0:3], s[4:5], 0x0
	s_load_dwordx2 s[14:15], s[4:5], 0x10
	s_waitcnt lgkmcnt(0)
	s_mul_i32 s4, s10, s8
	s_add_i32 s4, s4, s6
	s_mul_i32 s16, s4, s11
	s_add_i32 s16, s16, s7
	s_lshl_b32 s18, s17, 1
	s_mul_i32 s4, s16, s17
	v_cmp_gt_i32_e32 vcc, s18, v0
	s_and_saveexec_b64 s[6:7], vcc
	s_cbranch_execz .LBB4_13
; %bb.1:
	v_xad_u32 v1, v0, -1, s18
	s_movk_i32 s8, 0xff
	s_ashr_i32 s5, s4, 31
	v_cmp_lt_u32_e32 vcc, s8, v1
	s_mov_b64 s[10:11], -1
	v_mov_b32_e32 v2, v0
	s_and_saveexec_b64 s[8:9], vcc
	s_cbranch_execz .LBB4_10
; %bb.2:
	v_lshrrev_b32_e32 v6, 8, v1
	s_lshl_b64 s[10:11], s[4:5], 3
	v_add_u32_e32 v2, -1, v6
	s_add_u32 s19, s2, s10
	v_or_b32_e32 v1, 0x100, v0
	v_lshrrev_b32_e32 v3, 1, v2
	s_addc_u32 s20, s3, s11
	v_add_u32_e32 v7, 1, v3
	v_cmp_lt_u32_e32 vcc, 13, v2
	v_mov_b32_e32 v4, 0
	v_pk_mov_b32 v[2:3], v[0:1], v[0:1] op_sel:[0,1]
	s_and_saveexec_b64 s[10:11], vcc
	s_cbranch_execz .LBB4_6
; %bb.3:
	v_and_b32_e32 v8, -8, v7
	s_mov_b32 s21, 0
	v_lshl_add_u32 v9, v0, 2, 0
	s_mov_b64 s[12:13], 0
	v_mov_b32_e32 v10, s20
	v_mov_b32_e32 v5, 0
	v_pk_mov_b32 v[2:3], v[0:1], v[0:1] op_sel:[0,1]
.LBB4_4:                                ; =>This Inner Loop Header: Depth=1
	v_mov_b32_e32 v4, v2
	v_lshlrev_b64 v[26:27], 2, v[4:5]
	v_add_u32_e32 v12, 0x200, v3
	v_mov_b32_e32 v13, v5
	v_add_co_u32_e32 v26, vcc, s19, v26
	v_lshlrev_b64 v[12:13], 2, v[12:13]
	v_addc_co_u32_e32 v27, vcc, v10, v27, vcc
	v_add_u32_e32 v14, 0x400, v3
	v_mov_b32_e32 v15, v5
	v_add_co_u32_e32 v12, vcc, s19, v12
	v_lshlrev_b64 v[14:15], 2, v[14:15]
	v_addc_co_u32_e32 v13, vcc, v10, v13, vcc
	;; [unrolled: 5-line block ×7, first 2 shown]
	v_mov_b32_e32 v4, v3
	v_add_co_u32_e32 v24, vcc, s19, v24
	v_lshlrev_b64 v[28:29], 2, v[4:5]
	v_addc_co_u32_e32 v25, vcc, v10, v25, vcc
	v_add_u32_e32 v4, 0x200, v2
	v_add_co_u32_e32 v28, vcc, s19, v28
	v_addc_co_u32_e32 v29, vcc, v10, v29, vcc
	global_load_dword v1, v[26:27], off
	v_lshlrev_b64 v[26:27], 2, v[4:5]
	v_add_u32_e32 v4, 0x400, v2
	v_add_co_u32_e32 v26, vcc, s19, v26
	v_addc_co_u32_e32 v27, vcc, v10, v27, vcc
	v_lshlrev_b64 v[30:31], 2, v[4:5]
	v_add_u32_e32 v4, 0x600, v2
	global_load_dword v11, v[28:29], off
	global_load_dword v32, v[26:27], off
	;; [unrolled: 1-line block ×3, first 2 shown]
	v_add_co_u32_e32 v12, vcc, s19, v30
	v_addc_co_u32_e32 v13, vcc, v10, v31, vcc
	v_lshlrev_b64 v[26:27], 2, v[4:5]
	v_add_u32_e32 v4, 0x800, v2
	v_add_co_u32_e32 v26, vcc, s19, v26
	v_addc_co_u32_e32 v27, vcc, v10, v27, vcc
	v_lshlrev_b64 v[28:29], 2, v[4:5]
	v_add_u32_e32 v4, 0xa00, v2
	global_load_dword v30, v[12:13], off
	global_load_dword v31, v[14:15], off
	;; [unrolled: 1-line block ×4, first 2 shown]
	v_add_co_u32_e32 v12, vcc, s19, v28
	v_addc_co_u32_e32 v13, vcc, v10, v29, vcc
	v_lshlrev_b64 v[14:15], 2, v[4:5]
	v_add_u32_e32 v4, 0xc00, v2
	v_add_co_u32_e32 v14, vcc, s19, v14
	v_addc_co_u32_e32 v15, vcc, v10, v15, vcc
	v_lshlrev_b64 v[16:17], 2, v[4:5]
	v_add_u32_e32 v4, 0xe00, v2
	global_load_dword v26, v[12:13], off
	global_load_dword v27, v[18:19], off
	;; [unrolled: 1-line block ×4, first 2 shown]
	v_add_co_u32_e32 v12, vcc, s19, v16
	v_addc_co_u32_e32 v13, vcc, v10, v17, vcc
	v_lshlrev_b64 v[14:15], 2, v[4:5]
	v_add_co_u32_e32 v14, vcc, s19, v14
	v_addc_co_u32_e32 v15, vcc, v10, v15, vcc
	global_load_dword v16, v[12:13], off
	global_load_dword v17, v[22:23], off
	;; [unrolled: 1-line block ×4, first 2 shown]
	v_add_u32_e32 v8, -8, v8
	s_add_i32 s21, s21, 16
	v_cmp_eq_u32_e32 vcc, 0, v8
	v_add_u32_e32 v3, 0x1000, v3
	v_mov_b32_e32 v4, s21
	s_or_b64 s[12:13], vcc, s[12:13]
	v_add_u32_e32 v2, 0x1000, v2
	s_waitcnt vmcnt(14)
	ds_write2st64_b32 v9, v1, v11 offset1:4
	s_waitcnt vmcnt(12)
	ds_write2st64_b32 v9, v32, v33 offset0:8 offset1:12
	s_waitcnt vmcnt(10)
	ds_write2st64_b32 v9, v30, v31 offset0:16 offset1:20
	;; [unrolled: 2-line block ×7, first 2 shown]
	v_add_u32_e32 v9, 0x4000, v9
	s_andn2_b64 exec, exec, s[12:13]
	s_cbranch_execnz .LBB4_4
; %bb.5:
	s_or_b64 exec, exec, s[12:13]
.LBB4_6:
	s_or_b64 exec, exec, s[10:11]
	v_and_b32_e32 v1, 7, v7
	v_cmp_ne_u32_e32 vcc, 0, v1
	s_and_saveexec_b64 s[10:11], vcc
	s_cbranch_execz .LBB4_9
; %bb.7:
	v_lshlrev_b32_e32 v5, 2, v0
	v_lshl_or_b32 v4, v4, 10, v5
	v_add_u32_e32 v7, 0, v4
	s_mov_b64 s[12:13], 0
	v_mov_b32_e32 v8, s20
	v_mov_b32_e32 v5, 0
.LBB4_8:                                ; =>This Inner Loop Header: Depth=1
	v_mov_b32_e32 v4, v2
	v_lshlrev_b64 v[10:11], 2, v[4:5]
	v_mov_b32_e32 v4, v3
	v_add_co_u32_e32 v10, vcc, s19, v10
	v_addc_co_u32_e32 v11, vcc, v8, v11, vcc
	v_lshlrev_b64 v[12:13], 2, v[4:5]
	v_add_co_u32_e32 v12, vcc, s19, v12
	v_addc_co_u32_e32 v13, vcc, v8, v13, vcc
	global_load_dword v4, v[10:11], off
	global_load_dword v9, v[12:13], off
	v_add_u32_e32 v1, -1, v1
	v_cmp_eq_u32_e32 vcc, 0, v1
	v_add_u32_e32 v2, 0x200, v2
	v_add_u32_e32 v3, 0x200, v3
	s_or_b64 s[12:13], vcc, s[12:13]
	s_waitcnt vmcnt(0)
	ds_write2st64_b32 v7, v4, v9 offset1:4
	v_add_u32_e32 v7, 0x800, v7
	s_andn2_b64 exec, exec, s[12:13]
	s_cbranch_execnz .LBB4_8
.LBB4_9:
	s_or_b64 exec, exec, s[10:11]
	v_add_u32_e32 v1, 1, v6
	v_and_b32_e32 v3, 0x1fffffe, v1
	v_cmp_ne_u32_e32 vcc, v1, v3
	v_lshl_or_b32 v2, v3, 8, v0
	s_orn2_b64 s[10:11], vcc, exec
.LBB4_10:
	s_or_b64 exec, exec, s[8:9]
	s_and_b64 exec, exec, s[10:11]
	s_cbranch_execz .LBB4_13
; %bb.11:
	s_lshl_b64 s[8:9], s[4:5], 3
	v_mov_b32_e32 v3, 0
	s_add_u32 s2, s2, s8
	v_lshlrev_b64 v[4:5], 2, v[2:3]
	s_addc_u32 s3, s3, s9
	v_mov_b32_e32 v1, s3
	v_add_co_u32_e32 v4, vcc, s2, v4
	v_addc_co_u32_e32 v5, vcc, v1, v5, vcc
	v_lshl_add_u32 v1, v2, 2, 0
	s_mov_b64 s[2:3], 0
.LBB4_12:                               ; =>This Inner Loop Header: Depth=1
	global_load_dword v3, v[4:5], off
	v_add_co_u32_e32 v4, vcc, 0x400, v4
	v_add_u32_e32 v2, 0x100, v2
	v_addc_co_u32_e32 v5, vcc, 0, v5, vcc
	v_cmp_le_i32_e32 vcc, s18, v2
	s_or_b64 s[2:3], vcc, s[2:3]
	s_waitcnt vmcnt(0)
	ds_write_b32 v1, v3
	v_add_u32_e32 v1, 0x400, v1
	s_andn2_b64 exec, exec, s[2:3]
	s_cbranch_execnz .LBB4_12
.LBB4_13:
	s_or_b64 exec, exec, s[6:7]
	v_mov_b32_e32 v1, 0
	s_waitcnt lgkmcnt(0)
	s_barrier
	ds_read_b32 v1, v1
	s_cmp_lt_i32 s17, 2
	s_cbranch_scc1 .LBB4_21
; %bb.14:
	s_add_i32 s2, s17, -1
	s_add_i32 s3, s17, -2
	s_cmp_lt_u32 s3, 7
	s_cbranch_scc1 .LBB4_18
; %bb.15:
	s_mov_b32 s6, 0
	s_add_i32 s3, 0, 8
	s_and_b32 s5, s2, -8
.LBB4_16:                               ; =>This Inner Loop Header: Depth=1
	v_mov_b32_e32 v8, s3
	ds_read2_b32 v[2:3], v8 offset1:2
	ds_read2_b32 v[4:5], v8 offset0:4 offset1:6
	ds_read2_b32 v[6:7], v8 offset0:8 offset1:10
	;; [unrolled: 1-line block ×3, first 2 shown]
	s_mov_b32 s7, s6
	s_waitcnt lgkmcnt(3)
	v_max3_f32 v1, v1, v2, v3
	s_waitcnt lgkmcnt(2)
	v_max3_f32 v1, v1, v4, v5
	s_add_i32 s3, s3, 64
	s_add_i32 s6, s6, 8
	s_waitcnt lgkmcnt(1)
	v_max3_f32 v1, v1, v6, v7
	s_cmp_eq_u32 s5, s6
	s_waitcnt lgkmcnt(0)
	v_max3_f32 v1, v1, v8, v9
	s_cbranch_scc0 .LBB4_16
; %bb.17:
	s_add_i32 s3, s7, 9
	s_and_b32 s2, s2, 7
	s_cmp_eq_u32 s2, 0
	s_cbranch_scc0 .LBB4_19
	s_branch .LBB4_21
.LBB4_18:
	s_mov_b32 s3, 1
	s_and_b32 s2, s2, 7
	s_cmp_eq_u32 s2, 0
	s_cbranch_scc1 .LBB4_21
.LBB4_19:
	s_lshl_b32 s3, s3, 3
	s_add_i32 s3, s3, 0
.LBB4_20:                               ; =>This Inner Loop Header: Depth=1
	v_mov_b32_e32 v2, s3
	ds_read_b32 v2, v2
	s_waitcnt lgkmcnt(1)
	v_max_f32_e32 v1, v1, v1
	s_add_i32 s3, s3, 8
	s_add_i32 s2, s2, -1
	s_cmp_lg_u32 s2, 0
	s_waitcnt lgkmcnt(0)
	v_max_f32_e32 v2, v2, v2
	v_max_f32_e32 v1, v1, v2
	s_cbranch_scc1 .LBB4_20
.LBB4_21:
	s_cmp_lt_i32 s17, 1
	s_cbranch_scc1 .LBB4_26
; %bb.22:
	s_lshl_b32 s2, s4, 8
	s_ashr_i32 s3, s2, 31
	s_lshl_b64 s[2:3], s[2:3], 2
	s_add_u32 s18, s0, s2
	s_addc_u32 s19, s1, s3
	s_cmp_lt_u32 s17, 8
	v_mov_b32_e32 v6, 0
	s_cbranch_scc1 .LBB4_27
; %bb.23:
	s_and_b32 s20, s17, 0x7ffffff8
	v_or_b32_e32 v2, 0x700, v0
	s_mov_b32 s21, 0
	v_mov_b32_e32 v5, 0
	s_mov_b32 s22, 0x3fb8aa3b
	s_mov_b32 s23, 0xc2ce8ed0
	;; [unrolled: 1-line block ×3, first 2 shown]
	v_mov_b32_e32 v8, 0x7f800000
	v_mov_b32_e32 v9, s19
	s_mov_b32 s25, 0
	v_mov_b32_e32 v7, 0
	v_mov_b32_e32 v6, 0
.LBB4_24:                               ; =>This Inner Loop Header: Depth=1
	v_add_u32_e32 v4, 0xfffff900, v2
	v_lshlrev_b64 v[26:27], 2, v[4:5]
	v_mov_b32_e32 v3, v5
	v_add_co_u32_e32 v26, vcc, s18, v26
	v_lshlrev_b64 v[28:29], 2, v[2:3]
	v_addc_co_u32_e32 v27, vcc, v9, v27, vcc
	v_add_u32_e32 v4, 0xfffffa00, v2
	v_add_co_u32_e32 v28, vcc, s18, v28
	v_mov_b32_e32 v22, s21
	v_lshlrev_b64 v[30:31], 2, v[4:5]
	v_addc_co_u32_e32 v29, vcc, v9, v29, vcc
	ds_read2_b64 v[10:13], v22 offset1:1
	ds_read2_b64 v[14:17], v22 offset0:2 offset1:3
	ds_read2_b64 v[18:21], v22 offset0:4 offset1:5
	;; [unrolled: 1-line block ×3, first 2 shown]
	v_add_u32_e32 v4, 0xfffffb00, v2
	global_load_dword v3, v[26:27], off
	v_add_co_u32_e32 v26, vcc, s18, v30
	v_addc_co_u32_e32 v27, vcc, v9, v31, vcc
	v_lshlrev_b64 v[30:31], 2, v[4:5]
	v_add_u32_e32 v4, 0xfffffc00, v2
	v_add_co_u32_e32 v30, vcc, s18, v30
	v_addc_co_u32_e32 v31, vcc, v9, v31, vcc
	v_lshlrev_b64 v[32:33], 2, v[4:5]
	v_add_u32_e32 v4, 0xfffffd00, v2
	global_load_dword v34, v[26:27], off
	global_load_dword v35, v[30:31], off
	v_add_co_u32_e32 v26, vcc, s18, v32
	v_addc_co_u32_e32 v27, vcc, v9, v33, vcc
	v_lshlrev_b64 v[30:31], 2, v[4:5]
	v_add_u32_e32 v4, 0xfffffe00, v2
	v_add_co_u32_e32 v30, vcc, s18, v30
	v_addc_co_u32_e32 v31, vcc, v9, v31, vcc
	v_lshlrev_b64 v[32:33], 2, v[4:5]
	global_load_dword v36, v[26:27], off
	v_add_u32_e32 v4, 0xffffff00, v2
	global_load_dword v28, v[28:29], off
	v_add_co_u32_e32 v26, vcc, s18, v32
	v_addc_co_u32_e32 v27, vcc, v9, v33, vcc
	global_load_dword v42, v[30:31], off
	s_waitcnt lgkmcnt(3)
	v_sub_f32_e32 v12, v12, v1
	global_load_dword v26, v[26:27], off
	v_lshlrev_b64 v[30:31], 2, v[4:5]
	v_add_co_u32_e32 v30, vcc, s18, v30
	v_addc_co_u32_e32 v31, vcc, v9, v31, vcc
	global_load_dword v30, v[30:31], off
	s_waitcnt lgkmcnt(2)
	v_sub_f32_e32 v14, v14, v1
	v_sub_f32_e32 v10, v10, v1
	v_mul_f32_e32 v38, 0x3fb8aa3b, v12
	v_mul_f32_e32 v39, 0x3fb8aa3b, v14
	s_waitcnt lgkmcnt(1)
	v_sub_f32_e32 v18, v18, v1
	s_waitcnt lgkmcnt(0)
	v_sub_f32_e32 v22, v22, v1
	v_mul_f32_e32 v37, 0x3fb8aa3b, v10
	v_fma_f32 v45, v12, s22, -v38
	v_rndne_f32_e32 v46, v38
	v_fma_f32 v47, v14, s22, -v39
	v_rndne_f32_e32 v48, v39
	v_sub_f32_e32 v16, v16, v1
	v_sub_f32_e32 v20, v20, v1
	v_mul_f32_e32 v41, 0x3fb8aa3b, v18
	v_mul_f32_e32 v32, 0x3fb8aa3b, v22
	v_fma_f32 v33, v10, s22, -v37
	v_rndne_f32_e32 v44, v37
	v_fmac_f32_e32 v45, 0x32a5705f, v12
	v_sub_f32_e32 v38, v38, v46
	v_fmac_f32_e32 v47, 0x32a5705f, v14
	v_sub_f32_e32 v39, v39, v48
	v_mul_f32_e32 v40, 0x3fb8aa3b, v16
	v_mul_f32_e32 v43, 0x3fb8aa3b, v20
	v_fma_f32 v27, v18, s22, -v41
	v_rndne_f32_e32 v31, v41
	v_fmac_f32_e32 v33, 0x32a5705f, v10
	v_sub_f32_e32 v37, v37, v44
	v_add_f32_e32 v38, v38, v45
	v_fma_f32 v45, v22, s22, -v32
	v_add_f32_e32 v39, v39, v47
	v_rndne_f32_e32 v47, v32
	v_fma_f32 v49, v16, s22, -v40
	v_rndne_f32_e32 v50, v40
	v_fma_f32 v29, v20, s22, -v43
	v_add_f32_e32 v33, v37, v33
	v_rndne_f32_e32 v37, v43
	v_fmac_f32_e32 v27, 0x32a5705f, v18
	v_sub_f32_e32 v41, v41, v31
	v_fmac_f32_e32 v45, 0x32a5705f, v22
	v_sub_f32_e32 v32, v32, v47
	v_fmac_f32_e32 v49, 0x32a5705f, v16
	v_sub_f32_e32 v40, v40, v50
	v_add_f32_e32 v27, v41, v27
	v_cvt_i32_f32_e32 v44, v44
	v_fmac_f32_e32 v29, 0x32a5705f, v20
	v_sub_f32_e32 v43, v43, v37
	v_add_f32_e32 v32, v32, v45
	v_exp_f32_e32 v33, v33
	v_add_f32_e32 v40, v40, v49
	v_cvt_i32_f32_e32 v46, v46
	v_cvt_i32_f32_e32 v31, v31
	;; [unrolled: 1-line block ×3, first 2 shown]
	v_add_f32_e32 v29, v43, v29
	v_exp_f32_e32 v38, v38
	v_exp_f32_e32 v27, v27
	;; [unrolled: 1-line block ×3, first 2 shown]
	v_sub_f32_e32 v24, v24, v1
	v_cvt_i32_f32_e32 v48, v48
	v_cvt_i32_f32_e32 v50, v50
	v_cvt_i32_f32_e32 v37, v37
	v_exp_f32_e32 v39, v39
	v_exp_f32_e32 v40, v40
	;; [unrolled: 1-line block ×3, first 2 shown]
	v_mul_f32_e32 v4, 0x3fb8aa3b, v24
	v_fma_f32 v49, v24, s22, -v4
	v_rndne_f32_e32 v41, v4
	v_ldexp_f32 v33, v33, v44
	v_cmp_ngt_f32_e64 s[12:13], s23, v10
	v_fmac_f32_e32 v49, 0x32a5705f, v24
	v_sub_f32_e32 v4, v4, v41
	v_ldexp_f32 v38, v38, v46
	v_cmp_ngt_f32_e32 vcc, s23, v12
	v_ldexp_f32 v27, v27, v31
	v_ldexp_f32 v31, v32, v47
	v_cndmask_b32_e64 v32, 0, v33, s[12:13]
	v_cmp_nlt_f32_e64 s[12:13], s24, v10
	v_add_f32_e32 v4, v4, v49
	v_ldexp_f32 v39, v39, v48
	v_cmp_ngt_f32_e64 s[0:1], s23, v14
	v_ldexp_f32 v40, v40, v50
	v_cmp_ngt_f32_e64 s[2:3], s23, v16
	v_cmp_ngt_f32_e64 s[4:5], s23, v18
	v_ldexp_f32 v29, v29, v37
	v_cmp_ngt_f32_e64 s[6:7], s23, v20
	v_cmp_ngt_f32_e64 s[8:9], s23, v22
	v_cndmask_b32_e32 v33, 0, v38, vcc
	v_cmp_nlt_f32_e32 vcc, s24, v12
	v_cndmask_b32_e64 v10, v8, v32, s[12:13]
	v_cvt_i32_f32_e32 v41, v41
	v_exp_f32_e32 v4, v4
	v_cndmask_b32_e64 v12, 0, v39, s[0:1]
	v_cmp_nlt_f32_e64 s[0:1], s24, v14
	v_cndmask_b32_e64 v14, 0, v40, s[2:3]
	v_cmp_nlt_f32_e64 s[2:3], s24, v16
	;; [unrolled: 2-line block ×5, first 2 shown]
	v_cndmask_b32_e32 v22, v8, v33, vcc
	v_fmac_f32_e32 v7, v10, v11
	s_waitcnt vmcnt(7)
	v_fmac_f32_e32 v6, v3, v10
	v_cndmask_b32_e64 v12, v8, v12, s[0:1]
	v_fmac_f32_e32 v7, v22, v13
	s_waitcnt vmcnt(6)
	v_fmac_f32_e32 v6, v34, v22
	v_cndmask_b32_e64 v14, v8, v14, s[2:3]
	;; [unrolled: 4-line block ×3, first 2 shown]
	v_fmac_f32_e32 v7, v14, v17
	s_waitcnt vmcnt(4)
	v_fmac_f32_e32 v6, v36, v14
	v_ldexp_f32 v4, v4, v41
	v_cmp_ngt_f32_e64 s[10:11], s23, v24
	v_cndmask_b32_e64 v18, v8, v18, s[6:7]
	v_fmac_f32_e32 v7, v16, v19
	s_waitcnt vmcnt(2)
	v_fmac_f32_e32 v6, v42, v16
	v_cndmask_b32_e64 v4, 0, v4, s[10:11]
	v_cmp_nlt_f32_e64 s[10:11], s24, v24
	v_cndmask_b32_e64 v20, v8, v20, s[8:9]
	v_fmac_f32_e32 v7, v18, v21
	s_waitcnt vmcnt(1)
	v_fmac_f32_e32 v6, v26, v18
	s_add_i32 s25, s25, 8
	s_add_i32 s21, s21, 64
	v_cndmask_b32_e64 v4, v8, v4, s[10:11]
	v_fmac_f32_e32 v7, v20, v23
	s_waitcnt vmcnt(0)
	v_fmac_f32_e32 v6, v30, v20
	s_cmp_eq_u32 s20, s25
	v_add_u32_e32 v2, 0x800, v2
	v_fmac_f32_e32 v7, v4, v25
	v_fmac_f32_e32 v6, v28, v4
	s_cbranch_scc0 .LBB4_24
; %bb.25:
	s_and_b32 s0, s17, 7
	s_cmp_eq_u32 s0, 0
	s_cbranch_scc0 .LBB4_28
	s_branch .LBB4_30
.LBB4_26:
	s_waitcnt lgkmcnt(0)
	v_mov_b32_e32 v1, 0x7fc00000
	s_branch .LBB4_31
.LBB4_27:
	s_mov_b32 s20, 0
	v_mov_b32_e32 v7, 0
	s_and_b32 s0, s17, 7
	s_cmp_eq_u32 s0, 0
	s_cbranch_scc1 .LBB4_30
.LBB4_28:
	s_lshl_b32 s1, s20, 3
	v_lshl_or_b32 v2, s20, 8, v0
	s_add_i32 s1, s1, 0
	s_mov_b32 s2, 0x3fb8aa3b
	s_mov_b32 s3, 0xc2ce8ed0
	;; [unrolled: 1-line block ×3, first 2 shown]
	v_mov_b32_e32 v4, 0x7f800000
	v_mov_b32_e32 v3, 0
	;; [unrolled: 1-line block ×3, first 2 shown]
.LBB4_29:                               ; =>This Inner Loop Header: Depth=1
	v_lshlrev_b64 v[8:9], 2, v[2:3]
	v_add_co_u32_e32 v8, vcc, s18, v8
	v_addc_co_u32_e32 v9, vcc, v5, v9, vcc
	global_load_dword v10, v[8:9], off
	v_mov_b32_e32 v8, s1
	ds_read_b64 v[8:9], v8
	s_add_i32 s1, s1, 8
	s_add_i32 s0, s0, -1
	v_add_u32_e32 v2, 0x100, v2
	s_cmp_lg_u32 s0, 0
	s_waitcnt lgkmcnt(0)
	v_sub_f32_e32 v8, v8, v1
	v_mul_f32_e32 v11, 0x3fb8aa3b, v8
	v_fma_f32 v12, v8, s2, -v11
	v_rndne_f32_e32 v13, v11
	v_fmac_f32_e32 v12, 0x32a5705f, v8
	v_sub_f32_e32 v11, v11, v13
	v_add_f32_e32 v11, v11, v12
	v_cvt_i32_f32_e32 v13, v13
	v_exp_f32_e32 v11, v11
	v_cmp_ngt_f32_e32 vcc, s3, v8
	v_ldexp_f32 v11, v11, v13
	v_cndmask_b32_e32 v11, 0, v11, vcc
	v_cmp_nlt_f32_e32 vcc, s4, v8
	v_cndmask_b32_e32 v8, v4, v11, vcc
	v_fmac_f32_e32 v7, v8, v9
	s_waitcnt vmcnt(0)
	v_fmac_f32_e32 v6, v10, v8
	s_cbranch_scc1 .LBB4_29
.LBB4_30:
	s_waitcnt lgkmcnt(0)
	v_div_scale_f32 v1, s[0:1], v7, v7, v6
	v_rcp_f32_e32 v2, v1
	v_div_scale_f32 v3, vcc, v6, v7, v6
	v_fma_f32 v4, -v1, v2, 1.0
	v_fmac_f32_e32 v2, v4, v2
	v_mul_f32_e32 v4, v3, v2
	v_fma_f32 v5, -v1, v4, v3
	v_fmac_f32_e32 v4, v5, v2
	v_fma_f32 v1, -v1, v4, v3
	v_div_fmas_f32 v1, v1, v2, v4
	v_div_fixup_f32 v1, v1, v7, v6
.LBB4_31:
	s_lshl_b32 s0, s16, 8
	s_ashr_i32 s1, s0, 31
	s_lshl_b64 s[0:1], s[0:1], 2
	s_add_u32 s0, s14, s0
	s_addc_u32 s1, s15, s1
	v_lshlrev_b32_e32 v0, 2, v0
	global_store_dword v0, v1, s[0:1]
	s_endpgm
	.section	.rodata,"a",@progbits
	.p2align	6, 0x0
	.amdhsa_kernel _ZL26flash_attn_combine_resultsILi256EEvPKfPK15HIP_vector_typeIfLj2EEPfi
		.amdhsa_group_segment_fixed_size 0
		.amdhsa_private_segment_fixed_size 0
		.amdhsa_kernarg_size 288
		.amdhsa_user_sgpr_count 6
		.amdhsa_user_sgpr_private_segment_buffer 1
		.amdhsa_user_sgpr_dispatch_ptr 0
		.amdhsa_user_sgpr_queue_ptr 0
		.amdhsa_user_sgpr_kernarg_segment_ptr 1
		.amdhsa_user_sgpr_dispatch_id 0
		.amdhsa_user_sgpr_flat_scratch_init 0
		.amdhsa_user_sgpr_kernarg_preload_length 0
		.amdhsa_user_sgpr_kernarg_preload_offset 0
		.amdhsa_user_sgpr_private_segment_size 0
		.amdhsa_uses_dynamic_stack 0
		.amdhsa_system_sgpr_private_segment_wavefront_offset 0
		.amdhsa_system_sgpr_workgroup_id_x 1
		.amdhsa_system_sgpr_workgroup_id_y 1
		.amdhsa_system_sgpr_workgroup_id_z 1
		.amdhsa_system_sgpr_workgroup_info 0
		.amdhsa_system_vgpr_workitem_id 0
		.amdhsa_next_free_vgpr 51
		.amdhsa_next_free_sgpr 26
		.amdhsa_accum_offset 52
		.amdhsa_reserve_vcc 1
		.amdhsa_reserve_flat_scratch 0
		.amdhsa_float_round_mode_32 0
		.amdhsa_float_round_mode_16_64 0
		.amdhsa_float_denorm_mode_32 3
		.amdhsa_float_denorm_mode_16_64 3
		.amdhsa_dx10_clamp 1
		.amdhsa_ieee_mode 1
		.amdhsa_fp16_overflow 0
		.amdhsa_tg_split 0
		.amdhsa_exception_fp_ieee_invalid_op 0
		.amdhsa_exception_fp_denorm_src 0
		.amdhsa_exception_fp_ieee_div_zero 0
		.amdhsa_exception_fp_ieee_overflow 0
		.amdhsa_exception_fp_ieee_underflow 0
		.amdhsa_exception_fp_ieee_inexact 0
		.amdhsa_exception_int_div_zero 0
	.end_amdhsa_kernel
	.section	.text._ZL26flash_attn_combine_resultsILi256EEvPKfPK15HIP_vector_typeIfLj2EEPfi,"axG",@progbits,_ZL26flash_attn_combine_resultsILi256EEvPKfPK15HIP_vector_typeIfLj2EEPfi,comdat
.Lfunc_end4:
	.size	_ZL26flash_attn_combine_resultsILi256EEvPKfPK15HIP_vector_typeIfLj2EEPfi, .Lfunc_end4-_ZL26flash_attn_combine_resultsILi256EEvPKfPK15HIP_vector_typeIfLj2EEPfi
                                        ; -- End function
	.section	.AMDGPU.csdata,"",@progbits
; Kernel info:
; codeLenInByte = 3048
; NumSgprs: 30
; NumVgprs: 51
; NumAgprs: 0
; TotalNumVgprs: 51
; ScratchSize: 0
; MemoryBound: 0
; FloatMode: 240
; IeeeMode: 1
; LDSByteSize: 0 bytes/workgroup (compile time only)
; SGPRBlocks: 3
; VGPRBlocks: 6
; NumSGPRsForWavesPerEU: 30
; NumVGPRsForWavesPerEU: 51
; AccumOffset: 52
; Occupancy: 8
; WaveLimiterHint : 0
; COMPUTE_PGM_RSRC2:SCRATCH_EN: 0
; COMPUTE_PGM_RSRC2:USER_SGPR: 6
; COMPUTE_PGM_RSRC2:TRAP_HANDLER: 0
; COMPUTE_PGM_RSRC2:TGID_X_EN: 1
; COMPUTE_PGM_RSRC2:TGID_Y_EN: 1
; COMPUTE_PGM_RSRC2:TGID_Z_EN: 1
; COMPUTE_PGM_RSRC2:TIDIG_COMP_CNT: 0
; COMPUTE_PGM_RSRC3_GFX90A:ACCUM_OFFSET: 12
; COMPUTE_PGM_RSRC3_GFX90A:TG_SPLIT: 0
	.section	.text._ZL15flash_attn_tileILi320ELi256ELi1ELi32ELb1EEvPKcS1_S1_S1_S1_PKiPfP15HIP_vector_typeIfLj2EEffffjfiS5_IjLj3EEiiiiiiiiiiiliiliiiiil,"axG",@progbits,_ZL15flash_attn_tileILi320ELi256ELi1ELi32ELb1EEvPKcS1_S1_S1_S1_PKiPfP15HIP_vector_typeIfLj2EEffffjfiS5_IjLj3EEiiiiiiiiiiiliiliiiiil,comdat
	.globl	_ZL15flash_attn_tileILi320ELi256ELi1ELi32ELb1EEvPKcS1_S1_S1_S1_PKiPfP15HIP_vector_typeIfLj2EEffffjfiS5_IjLj3EEiiiiiiiiiiiliiliiiiil ; -- Begin function _ZL15flash_attn_tileILi320ELi256ELi1ELi32ELb1EEvPKcS1_S1_S1_S1_PKiPfP15HIP_vector_typeIfLj2EEffffjfiS5_IjLj3EEiiiiiiiiiiiliiliiiiil
	.p2align	8
	.type	_ZL15flash_attn_tileILi320ELi256ELi1ELi32ELb1EEvPKcS1_S1_S1_S1_PKiPfP15HIP_vector_typeIfLj2EEffffjfiS5_IjLj3EEiiiiiiiiiiiliiliiiiil,@function
_ZL15flash_attn_tileILi320ELi256ELi1ELi32ELb1EEvPKcS1_S1_S1_S1_PKiPfP15HIP_vector_typeIfLj2EEffffjfiS5_IjLj3EEiiiiiiiiiiiliiliiiiil: ; @_ZL15flash_attn_tileILi320ELi256ELi1ELi32ELb1EEvPKcS1_S1_S1_S1_PKiPfP15HIP_vector_typeIfLj2EEffffjfiS5_IjLj3EEiiiiiiiiiiiliiliiiiil
; %bb.0:
	s_load_dwordx4 s[0:3], s[4:5], 0x5c
	s_load_dwordx2 s[28:29], s[4:5], 0x80
	s_load_dwordx2 s[34:35], s[4:5], 0xb8
	s_mov_b64 s[30:31], 0
	s_waitcnt lgkmcnt(0)
	s_ashr_i32 s9, s3, 31
	s_lshr_b32 s9, s9, 27
	s_add_i32 s9, s3, s9
	s_ashr_i32 s9, s9, 5
	v_cvt_f32_u32_e32 v1, s9
	s_sub_i32 s10, 0, s9
	v_rcp_iflag_f32_e32 v1, v1
	v_mul_f32_e32 v1, 0x4f7ffffe, v1
	v_cvt_u32_f32_e32 v1, v1
	v_readfirstlane_b32 s11, v1
	s_mul_i32 s10, s10, s11
	s_mul_hi_u32 s10, s11, s10
	s_add_i32 s11, s11, s10
	s_mul_hi_u32 s10, s8, s11
	s_mul_i32 s11, s10, s9
	s_sub_i32 s11, s8, s11
	s_add_i32 s12, s10, 1
	s_sub_i32 s13, s11, s9
	s_cmp_ge_u32 s11, s9
	s_cselect_b32 s10, s12, s10
	s_cselect_b32 s11, s13, s11
	s_add_i32 s12, s10, 1
	s_cmp_ge_u32 s11, s9
	s_cselect_b32 s33, s12, s10
	s_abs_i32 s9, s29
	v_cvt_f32_u32_e32 v1, s9
	s_lshl_b32 s8, s8, 5
	s_mul_i32 s12, s33, s3
	s_xor_b32 s10, s3, s29
	v_rcp_iflag_f32_e32 v1, v1
	s_sub_i32 s13, 0, s9
	s_sub_i32 s29, s8, s12
	s_abs_i32 s11, s3
	v_mul_f32_e32 v1, 0x4f7ffffe, v1
	v_cvt_u32_f32_e32 v1, v1
	s_ashr_i32 s10, s10, 31
	v_readfirstlane_b32 s8, v1
	s_mul_i32 s13, s13, s8
	s_mul_hi_u32 s12, s8, s13
	s_add_i32 s8, s8, s12
	s_mul_hi_u32 s8, s11, s8
	s_mul_i32 s12, s8, s9
	s_sub_i32 s11, s11, s12
	s_add_i32 s13, s8, 1
	s_sub_i32 s12, s11, s9
	s_cmp_ge_u32 s11, s9
	s_cselect_b32 s8, s13, s8
	s_cselect_b32 s11, s12, s11
	s_add_i32 s12, s8, 1
	s_cmp_ge_u32 s11, s9
	s_cselect_b32 s8, s12, s8
	s_xor_b32 s8, s8, s10
	s_sub_i32 s37, s8, s10
	s_abs_i32 s36, s37
	v_cvt_f32_u32_e32 v1, s36
	s_load_dwordx16 s[8:23], s[4:5], 0x0
	v_rcp_iflag_f32_e32 v1, v1
	s_waitcnt lgkmcnt(0)
	s_cmp_eq_u64 s[14:15], 0
	v_mul_f32_e32 v1, 0x4f7ffffe, v1
	v_cvt_u32_f32_e32 v1, v1
	v_readfirstlane_b32 s38, v1
	s_cbranch_scc1 .LBB5_2
; %bb.1:
	s_abs_i32 s26, s34
	v_cvt_f32_u32_e32 v1, s26
	s_sub_i32 s31, 0, s26
	s_abs_i32 s30, s33
	s_ashr_i32 s27, s33, 31
	v_rcp_iflag_f32_e32 v1, v1
	s_load_dwordx2 s[24:25], s[4:5], 0xc8
	v_mul_f32_e32 v1, 0x4f7ffffe, v1
	v_cvt_u32_f32_e32 v1, v1
	v_readfirstlane_b32 s34, v1
	s_mul_i32 s31, s31, s34
	s_mul_hi_u32 s31, s34, s31
	s_add_i32 s34, s34, s31
	s_mul_hi_u32 s31, s30, s34
	s_mul_i32 s31, s31, s26
	s_sub_i32 s30, s30, s31
	s_sub_i32 s31, s30, s26
	s_cmp_ge_u32 s30, s26
	s_cselect_b32 s30, s31, s30
	s_sub_i32 s31, s30, s26
	s_cmp_ge_u32 s30, s26
	s_cselect_b32 s26, s31, s30
	s_xor_b32 s26, s26, s27
	s_sub_i32 s26, s26, s27
	s_ashr_i32 s27, s26, 31
	s_waitcnt lgkmcnt(0)
	s_mul_i32 s25, s26, s25
	s_mul_hi_u32 s30, s26, s24
	s_add_i32 s25, s30, s25
	s_mul_i32 s27, s27, s24
	s_add_i32 s25, s25, s27
	s_mul_i32 s26, s26, s24
	s_add_u32 s30, s14, s26
	s_addc_u32 s31, s15, s25
.LBB5_2:
	s_load_dwordx4 s[24:27], s[4:5], 0x70
	v_bfe_u32 v8, v0, 10, 10
	v_lshrrev_b32_e32 v1, 4, v8
	v_add_u32_e32 v1, s6, v1
	v_mul_hi_u32 v2, s0, v1
	s_waitcnt lgkmcnt(0)
	s_mul_i32 s14, s33, s26
	s_ashr_i32 s26, s14, 31
	s_mul_i32 s15, s29, s25
	s_add_u32 s8, s8, s14
	v_add_u32_e32 v2, v1, v2
	s_addc_u32 s9, s9, s26
	s_ashr_i32 s14, s15, 31
	v_lshrrev_b32_e32 v2, s1, v2
	s_add_u32 s8, s8, s15
	v_mul_lo_u32 v2, v2, s2
	s_addc_u32 s9, s9, s14
	v_sub_u32_e32 v6, v1, v2
	s_ashr_i32 s14, s24, 31
	v_mov_b32_e32 v2, s24
	v_alignbit_b32 v2, s14, v2, 2
	v_mad_u64_u32 v[2:3], s[0:1], v2, v6, 0
	v_mov_b32_e32 v10, v3
	s_lshr_b32 s0, s14, 2
	v_mad_u64_u32 v[10:11], s[0:1], s0, v6, v[10:11]
	v_mov_b32_e32 v3, v10
	v_lshlrev_b64 v[2:3], 2, v[2:3]
	v_and_b32_e32 v0, 0x3ff, v0
	v_mov_b32_e32 v5, s9
	v_add_co_u32_e32 v2, vcc, s8, v2
	v_addc_co_u32_e32 v3, vcc, v5, v3, vcc
	v_lshlrev_b32_e32 v5, 4, v0
	v_lshlrev_b32_e32 v4, 1, v8
	s_ashr_i32 s15, s25, 31
	v_add_co_u32_e32 v5, vcc, v2, v5
	v_mov_b32_e32 v2, s25
	v_and_b32_e32 v23, 30, v4
	v_alignbit_b32 v2, s15, v2, 2
	v_addc_co_u32_e32 v7, vcc, 0, v3, vcc
	v_mad_u64_u32 v[2:3], s[0:1], v2, v23, 0
	v_mov_b32_e32 v10, v3
	s_lshr_b32 s0, s15, 2
	v_mad_u64_u32 v[10:11], s[0:1], s0, v23, v[10:11]
	v_mov_b32_e32 v3, v10
	v_lshlrev_b64 v[2:3], 2, v[2:3]
	v_add_co_u32_e32 v2, vcc, v5, v2
	v_addc_co_u32_e32 v3, vcc, v7, v3, vcc
	global_load_dwordx4 v[12:15], v[2:3], off
	global_load_dwordx4 v[16:19], v[2:3], off offset:512
	s_load_dword s8, s[4:5], 0x40
	v_lshlrev_b32_e32 v9, 1, v0
	v_mul_u32_u24_e32 v10, 0x140, v8
	s_mov_b32 s14, s25
	v_add_lshl_u32 v10, v10, v9, 2
	s_waitcnt lgkmcnt(0)
	s_mov_b32 s9, s8
	s_lshr_b64 s[0:1], s[14:15], 2
	v_cmp_gt_u32_e32 vcc, 16, v0
	s_waitcnt vmcnt(1)
	v_pk_mul_f32 v[12:13], v[12:13], s[8:9] op_sel_hi:[1,0]
	v_pk_mul_f32 v[14:15], v[14:15], s[8:9] op_sel_hi:[1,0]
	s_waitcnt vmcnt(0)
	v_pk_mul_f32 v[16:17], v[16:17], s[8:9] op_sel_hi:[1,0]
	v_pk_mul_f32 v[18:19], v[18:19], s[8:9] op_sel_hi:[1,0]
	v_cvt_f16_f32_e32 v11, v13
	v_cvt_f16_f32_e32 v12, v12
	;; [unrolled: 1-line block ×8, first 2 shown]
	v_pack_b32_f16 v13, v14, v13
	v_pack_b32_f16 v12, v12, v11
	;; [unrolled: 1-line block ×4, first 2 shown]
	ds_write2_b64 v10, v[12:13], v[14:15] offset1:32
	s_and_saveexec_b64 s[14:15], vcc
	s_cbranch_execz .LBB5_4
; %bb.3:
	global_load_dwordx4 v[12:15], v[2:3], off offset:1024
	s_waitcnt vmcnt(0)
	v_pk_mul_f32 v[2:3], v[12:13], s[8:9]
	v_pk_mul_f32 v[12:13], v[14:15], s[8:9]
	v_cvt_f16_f32_e32 v3, v3
	v_cvt_f16_f32_e32 v2, v2
	;; [unrolled: 1-line block ×4, first 2 shown]
	v_pack_b32_f16 v2, v2, v3
	v_pack_b32_f16 v3, v12, v11
	ds_write_b64 v10, v[2:3] offset:512
.LBB5_4:
	s_or_b64 exec, exec, s[14:15]
	v_or_b32_e32 v18, 1, v4
	v_and_b32_e32 v10, 31, v18
	v_mad_u64_u32 v[2:3], s[14:15], s0, v10, 0
	v_mov_b32_e32 v4, v3
	v_mad_u64_u32 v[10:11], s[0:1], s1, v10, v[4:5]
	v_mov_b32_e32 v3, v10
	v_lshlrev_b64 v[2:3], 2, v[2:3]
	v_add_co_u32_e64 v2, s[0:1], v5, v2
	v_addc_co_u32_e64 v3, s[0:1], v7, v3, s[0:1]
	global_load_dwordx4 v[10:13], v[2:3], off
	global_load_dwordx4 v[14:17], v[2:3], off offset:512
	v_mul_u32_u24_e32 v4, 0xa0, v18
	v_add_lshl_u32 v4, v4, v9, 2
	s_waitcnt vmcnt(1)
	v_pk_mul_f32 v[10:11], v[10:11], s[8:9]
	v_pk_mul_f32 v[12:13], v[12:13], s[8:9]
	s_waitcnt vmcnt(0)
	v_pk_mul_f32 v[14:15], v[14:15], s[8:9]
	v_pk_mul_f32 v[16:17], v[16:17], s[8:9]
	v_cvt_f16_f32_e32 v5, v11
	v_cvt_f16_f32_e32 v7, v10
	v_cvt_f16_f32_e32 v9, v13
	v_cvt_f16_f32_e32 v10, v12
	v_cvt_f16_f32_e32 v12, v15
	v_cvt_f16_f32_e32 v13, v17
	v_cvt_f16_f32_e32 v15, v16
	v_cvt_f16_f32_e32 v14, v14
	v_pack_b32_f16 v11, v10, v9
	v_pack_b32_f16 v10, v7, v5
	;; [unrolled: 1-line block ×4, first 2 shown]
	ds_write2_b64 v4, v[10:11], v[12:13] offset1:32
	s_and_saveexec_b64 s[0:1], vcc
	s_cbranch_execz .LBB5_6
; %bb.5:
	global_load_dwordx4 v[10:13], v[2:3], off offset:1024
	s_waitcnt vmcnt(0)
	v_pk_mul_f32 v[2:3], v[10:11], s[8:9]
	v_pk_mul_f32 v[10:11], v[12:13], s[8:9]
	v_cvt_f16_f32_e32 v3, v3
	v_cvt_f16_f32_e32 v2, v2
	;; [unrolled: 1-line block ×4, first 2 shown]
	v_pack_b32_f16 v2, v2, v3
	v_pack_b32_f16 v3, v7, v5
	ds_write_b64 v4, v[2:3] offset:512
.LBB5_6:
	s_or_b64 exec, exec, s[0:1]
	s_cmp_eq_u64 s[18:19], 0
	s_waitcnt lgkmcnt(0)
	s_barrier
	s_cbranch_scc1 .LBB5_8
; %bb.7:
	s_load_dword s0, s[4:5], 0xd0
	s_mov_b32 s1, 0
	s_waitcnt lgkmcnt(0)
	s_mul_i32 s0, s0, s33
	s_add_i32 s0, s0, s6
	s_lshl_b64 s[0:1], s[0:1], 2
	s_add_u32 s0, s18, s0
	s_addc_u32 s1, s19, s1
	s_load_dword s28, s[0:1], 0x0
.LBB5_8:
	s_lshl_b32 s6, s7, 7
	v_lshlrev_b32_e32 v22, 2, v0
	s_waitcnt lgkmcnt(0)
	s_cmp_lt_i32 s6, s28
	v_mbcnt_lo_u32_b32 v12, -1, 0
	s_cbranch_scc1 .LBB5_10
; %bb.9:
	v_mbcnt_hi_u32_b32 v7, -1, v12
	v_and_b32_e32 v2, 0x60, v7
	s_mov_b32 s0, 0xfeffffff
	s_mov_b32 s14, 0
	v_add_u32_e32 v47, 32, v2
	v_xor_b32_e32 v52, 16, v7
	v_xor_b32_e32 v48, 8, v7
	;; [unrolled: 1-line block ×5, first 2 shown]
	s_mov_b32 s1, s0
	s_mov_b64 s[8:9], 0
	s_branch .LBB5_11
.LBB5_10:
	s_mov_b64 s[8:9], -1
                                        ; implicit-def: $sgpr14
                                        ; implicit-def: $sgpr0_sgpr1
                                        ; implicit-def: $vgpr7
                                        ; implicit-def: $vgpr47
                                        ; implicit-def: $vgpr52
                                        ; implicit-def: $vgpr48
                                        ; implicit-def: $vgpr49
                                        ; implicit-def: $vgpr50
                                        ; implicit-def: $vgpr51
.LBB5_11:
	s_andn2_b64 vcc, exec, s[8:9]
	v_mov_b32_e32 v5, s14
	v_pk_mov_b32 v[2:3], s[0:1], s[0:1] op_sel:[0,1]
	v_mov_b32_e32 v42, s14
	v_mov_b32_e32 v4, s14
	;; [unrolled: 1-line block ×9, first 2 shown]
	s_cbranch_vccnz .LBB5_46
; %bb.12:
	s_sub_i32 s0, 0, s36
	s_mul_i32 s0, s0, s38
	s_mul_hi_u32 s0, s38, s0
	s_add_i32 s38, s38, s0
	s_load_dwordx4 s[24:27], s[4:5], 0x98
	s_load_dword s0, s[4:5], 0x54
	s_load_dwordx2 s[8:9], s[4:5], 0x8c
	s_abs_i32 s1, s29
	s_mul_hi_u32 s18, s1, s38
	s_waitcnt lgkmcnt(0)
	s_ashr_i32 s14, s26, 2
	s_ashr_i32 s26, s35, 1
	;; [unrolled: 1-line block ×4, first 2 shown]
	s_mul_i32 s25, s33, s25
	s_mul_hi_u32 s35, s33, s24
	s_add_i32 s25, s35, s25
	s_mul_i32 s35, s8, s24
	s_ashr_i32 s19, s29, 31
	s_ashr_i32 s34, s37, 31
	s_add_i32 s25, s25, s35
	s_mul_i32 s24, s33, s24
	s_add_u32 s10, s10, s24
	s_mul_i32 s24, s18, s36
	s_addc_u32 s11, s11, s25
	s_sub_i32 s1, s1, s24
	s_xor_b32 s19, s19, s34
	s_add_i32 s24, s18, 1
	s_sub_i32 s25, s1, s36
	s_cmp_ge_u32 s1, s36
	s_cselect_b32 s18, s24, s18
	s_cselect_b32 s1, s25, s1
	s_add_i32 s24, s18, 1
	s_cmp_ge_u32 s1, s36
	s_load_dwordx2 s[38:39], s[4:5], 0xa8
	s_cselect_b32 s1, s24, s18
	s_xor_b32 s1, s1, s19
	s_sub_i32 s1, s1, s19
	s_mul_i32 s9, s1, s9
	s_ashr_i32 s19, s9, 31
	s_add_u32 s18, s10, s9
	s_waitcnt lgkmcnt(0)
	s_mul_i32 s9, s33, s39
	s_mul_hi_u32 s10, s33, s38
	s_addc_u32 s19, s11, s19
	s_add_i32 s9, s10, s9
	s_mul_i32 s8, s8, s38
	s_add_i32 s9, s9, s8
	s_mul_i32 s8, s33, s38
	s_add_u32 s8, s12, s8
	s_mul_i32 s1, s1, s27
	s_addc_u32 s9, s13, s9
	s_ashr_i32 s10, s1, 31
	v_lshrrev_b32_e32 v2, 3, v0
	v_and_b32_e32 v4, 28, v22
	s_add_u32 s12, s8, s1
	v_lshl_add_u32 v2, v8, 2, v2
	v_lshlrev_b32_e32 v3, 2, v4
	s_movk_i32 s1, 0x90
	v_mad_u32_u24 v3, v2, s1, v3
	v_mul_lo_u32 v10, s15, v2
	v_lshlrev_b32_e32 v2, 9, v8
	v_add_u32_e32 v28, 0x9800, v2
	v_lshl_add_u32 v2, v22, 2, v2
	v_mul_lo_u32 v16, s14, v8
	s_addc_u32 s13, s9, s10
	v_lshl_add_u32 v14, s15, 6, v10
	v_mad_u64_u32 v[6:7], s[8:9], v6, s26, v[0:1]
	v_add_u32_e32 v29, 0x5000, v2
	v_add_u32_e32 v30, 0x7000, v2
	v_lshl_add_u32 v18, s14, 4, v16
	v_mov_b32_e32 v2, 0x5000
	v_mov_b32_e32 v37, 0
	v_ashrrev_i32_e32 v11, 31, v10
	v_ashrrev_i32_e32 v15, 31, v14
	;; [unrolled: 1-line block ×4, first 2 shown]
	v_lshl_add_u32 v31, v0, 3, v2
	s_add_u32 s8, s4, 0xd0
	v_mov_b32_e32 v2, 0xfeffffff
	v_add_u32_e32 v24, 0x5000, v3
	v_add_u32_e32 v25, 0x7400, v3
	v_mul_u32_u24_e32 v26, 0x90, v0
	v_mul_u32_u24_e32 v27, 0x500, v8
	s_addc_u32 s9, s5, 0
	s_mov_b32 s1, s0
	v_lshlrev_b64 v[8:9], 2, v[10:11]
	v_lshlrev_b32_e32 v32, 2, v4
	v_lshlrev_b64 v[10:11], 2, v[14:15]
	s_mov_b32 s24, 0x3f200000
	s_mov_b32 s25, 0x3fb8aa3b
	;; [unrolled: 1-line block ×4, first 2 shown]
	v_mov_b32_e32 v33, 0xbd5c1c4e
	v_mov_b32_e32 v34, 0x3e088382
	;; [unrolled: 1-line block ×3, first 2 shown]
	s_brev_b32 s34, -2
	v_mbcnt_hi_u32_b32 v7, -1, v12
	v_lshlrev_b64 v[12:13], 2, v[16:17]
	v_lshlrev_b64 v[14:15], 2, v[18:19]
	v_mov_b32_e32 v36, 0x7f800000
	v_mov_b32_e32 v39, 0
	;; [unrolled: 1-line block ×11, first 2 shown]
	s_branch .LBB5_14
.LBB5_13:                               ;   in Loop: Header=BB5_14 Depth=1
	s_or_b64 exec, exec, s[10:11]
	v_cvt_f32_f16_e32 v68, v19
	v_cvt_f32_f16_e32 v69, v53
	;; [unrolled: 1-line block ×4, first 2 shown]
	v_bfi_b32 v21, s34, v65, v21
	v_bfi_b32 v20, s34, v64, v20
	;; [unrolled: 1-line block ×4, first 2 shown]
	v_pk_fma_f32 v[64:65], v[20:21], s[0:1], v[68:69]
	v_fmac_f32_e32 v19, s0, v45
	v_fmac_f32_e32 v17, s0, v46
	v_add_f32_e32 v20, 0x40051340, v64
	v_add_f32_e32 v21, 0x40051340, v65
	;; [unrolled: 1-line block ×4, first 2 shown]
	v_max3_f32 v20, v3, v20, v21
	v_max3_f32 v20, v20, v45, v46
	ds_bpermute_b32 v21, v57, v20
	s_mul_hi_i32 s11, s6, s14
	s_mul_i32 s10, s6, s14
	s_lshl_b64 s[10:11], s[10:11], 2
	s_add_u32 s10, s12, s10
	s_waitcnt lgkmcnt(0)
	v_max_f32_e32 v21, v21, v21
	v_max_f32_e32 v20, v20, v21
	ds_bpermute_b32 v21, v58, v20
	s_addc_u32 s11, s13, s11
	s_waitcnt lgkmcnt(0)
	s_barrier
	v_max_f32_e32 v21, v21, v21
	v_max_f32_e32 v45, v20, v21
	ds_bpermute_b32 v46, v60, v45
	v_mov_b32_e32 v20, v2
	v_mov_b32_e32 v21, v3
	s_waitcnt lgkmcnt(0)
	v_max_f32_e32 v2, v46, v46
	v_max_f32_e32 v3, v45, v2
	ds_bpermute_b32 v45, v61, v3
	v_max_f32_e32 v2, v63, v63
	v_max_f32_e32 v46, v62, v62
	;; [unrolled: 1-line block ×3, first 2 shown]
	v_sub_f32_e32 v46, v56, v2
	s_waitcnt lgkmcnt(0)
	v_max_f32_e32 v45, v45, v45
	v_mul_f32_e32 v53, 0x3fb8aa3b, v46
	v_max_f32_e32 v3, v3, v45
	v_fma_f32 v54, v46, s25, -v53
	v_rndne_f32_e32 v56, v53
	ds_bpermute_b32 v45, v59, v3
	v_fmac_f32_e32 v54, 0x32a5705f, v46
	v_sub_f32_e32 v53, v53, v56
	v_add_f32_e32 v53, v53, v54
	v_exp_f32_e32 v53, v53
	v_cvt_i32_f32_e32 v54, v56
	s_waitcnt lgkmcnt(0)
	v_max_f32_e32 v45, v45, v45
	v_max_f32_e32 v3, v3, v45
	v_cmp_ngt_f32_e32 vcc, s26, v46
	v_ldexp_f32 v45, v53, v54
	v_sub_f32_e32 v53, v55, v2
	v_mul_f32_e32 v54, 0x3fb8aa3b, v53
	v_fma_f32 v55, v53, s25, -v54
	v_rndne_f32_e32 v56, v54
	v_fmac_f32_e32 v55, 0x32a5705f, v53
	v_sub_f32_e32 v54, v54, v56
	v_add_f32_e32 v54, v54, v55
	v_exp_f32_e32 v54, v54
	v_cvt_i32_f32_e32 v55, v56
	v_pk_add_f32 v[18:19], v[18:19], v[2:3] neg_lo:[0,1] neg_hi:[0,1]
	v_cndmask_b32_e32 v45, 0, v45, vcc
	v_cmp_nlt_f32_e32 vcc, s27, v46
	v_mul_f32_e32 v46, 0x3fb8aa3b, v19
	v_cndmask_b32_e32 v62, v36, v45, vcc
	v_ldexp_f32 v45, v54, v55
	v_fma_f32 v54, v19, s25, -v46
	v_rndne_f32_e32 v55, v46
	v_fmac_f32_e32 v54, 0x32a5705f, v19
	v_sub_f32_e32 v46, v46, v55
	v_add_f32_e32 v46, v46, v54
	v_exp_f32_e32 v46, v46
	v_cvt_i32_f32_e32 v54, v55
	v_cmp_ngt_f32_e32 vcc, s26, v53
	v_cndmask_b32_e32 v45, 0, v45, vcc
	v_cmp_nlt_f32_e32 vcc, s27, v53
	v_cndmask_b32_e32 v66, v36, v45, vcc
	v_ldexp_f32 v45, v46, v54
	v_mul_f32_e32 v46, 0x3fb8aa3b, v18
	v_fma_f32 v54, v18, s25, -v46
	v_rndne_f32_e32 v55, v46
	v_fmac_f32_e32 v54, 0x32a5705f, v18
	v_sub_f32_e32 v46, v46, v55
	v_add_f32_e32 v46, v46, v54
	v_exp_f32_e32 v46, v46
	v_cvt_i32_f32_e32 v54, v55
	v_cmp_ngt_f32_e32 vcc, s26, v19
	v_cndmask_b32_e32 v45, 0, v45, vcc
	v_cmp_nlt_f32_e32 vcc, s27, v19
	v_cndmask_b32_e32 v19, v36, v45, vcc
	v_ldexp_f32 v45, v46, v54
	v_mov_b32_e32 v46, v3
	v_pk_add_f32 v[64:65], v[64:65], v[46:47] op_sel_hi:[1,0] neg_lo:[0,1] neg_hi:[0,1]
	v_mul_f32_e32 v46, 0x3fb8aa3b, v65
	v_fma_f32 v54, v65, s25, -v46
	v_rndne_f32_e32 v55, v46
	v_fmac_f32_e32 v54, 0x32a5705f, v65
	v_sub_f32_e32 v46, v46, v55
	v_add_f32_e32 v46, v46, v54
	v_exp_f32_e32 v46, v46
	v_cvt_i32_f32_e32 v54, v55
	v_cmp_ngt_f32_e32 vcc, s26, v18
	v_cndmask_b32_e32 v45, 0, v45, vcc
	v_cmp_nlt_f32_e32 vcc, s27, v18
	v_cndmask_b32_e32 v18, v36, v45, vcc
	v_ldexp_f32 v45, v46, v54
	v_mul_f32_e32 v46, 0x3fb8aa3b, v64
	v_fma_f32 v54, v64, s25, -v46
	v_rndne_f32_e32 v55, v46
	v_fmac_f32_e32 v54, 0x32a5705f, v64
	v_sub_f32_e32 v46, v46, v55
	v_add_f32_e32 v46, v46, v54
	v_exp_f32_e32 v46, v46
	v_cvt_i32_f32_e32 v54, v55
	v_cmp_ngt_f32_e32 vcc, s26, v65
	v_cndmask_b32_e32 v45, 0, v45, vcc
	v_cmp_nlt_f32_e32 vcc, s27, v65
	v_cndmask_b32_e32 v67, v36, v45, vcc
	v_ldexp_f32 v45, v46, v54
	v_cmp_ngt_f32_e32 vcc, s26, v64
	v_cndmask_b32_e32 v46, 0, v45, vcc
	v_mov_b32_e32 v45, s11
	v_add_co_u32_e32 v54, vcc, s10, v12
	v_addc_co_u32_e32 v55, vcc, v45, v13, vcc
	v_lshlrev_b32_e32 v45, 2, v22
	v_add_co_u32_e32 v68, vcc, v54, v45
	v_addc_co_u32_e32 v69, vcc, 0, v55, vcc
	v_mov_b32_e32 v54, s11
	v_add_co_u32_e32 v55, vcc, s10, v14
	v_addc_co_u32_e32 v54, vcc, v54, v15, vcc
	v_add_co_u32_e32 v70, vcc, v55, v45
	v_addc_co_u32_e32 v71, vcc, 0, v54, vcc
	global_load_dwordx4 v[54:57], v[68:69], off
	global_load_dwordx4 v[58:61], v[70:71], off
	v_pk_add_f32 v[16:17], v[16:17], v[2:3] neg_lo:[0,1] neg_hi:[0,1]
	v_mul_f32_e32 v65, 0x3fb8aa3b, v17
	v_fma_f32 v68, v17, s25, -v65
	v_rndne_f32_e32 v69, v65
	v_fmac_f32_e32 v68, 0x32a5705f, v17
	v_sub_f32_e32 v65, v65, v69
	v_cmp_nlt_f32_e32 vcc, s27, v64
	v_add_f32_e32 v65, v65, v68
	v_cndmask_b32_e32 v63, v36, v46, vcc
	v_cvt_f16_f32_e32 v46, v19
	v_cvt_f16_f32_e32 v64, v18
	v_exp_f32_e32 v65, v65
	v_cvt_i32_f32_e32 v68, v69
	v_cmp_ngt_f32_e32 vcc, s26, v17
	v_pack_b32_f16 v46, v64, v46
	v_cvt_f16_f32_e32 v72, v62
	v_ldexp_f32 v64, v65, v68
	v_mul_f32_e32 v65, 0x3fb8aa3b, v16
	v_fma_f32 v68, v16, s25, -v65
	v_rndne_f32_e32 v71, v65
	v_fmac_f32_e32 v68, 0x32a5705f, v16
	v_sub_f32_e32 v65, v65, v71
	v_add_f32_e32 v65, v65, v68
	v_exp_f32_e32 v65, v65
	v_cvt_i32_f32_e32 v68, v71
	v_cndmask_b32_e32 v64, 0, v64, vcc
	v_cmp_nlt_f32_e32 vcc, s27, v17
	v_cndmask_b32_e32 v17, v36, v64, vcc
	v_ldexp_f32 v64, v65, v68
	v_cmp_ngt_f32_e32 vcc, s26, v16
	v_cvt_f16_f32_e32 v69, v63
	v_cndmask_b32_e32 v64, 0, v64, vcc
	v_cmp_nlt_f32_e32 vcc, s27, v16
	v_pk_add_f32 v[62:63], v[62:63], v[66:67]
	v_cndmask_b32_e32 v16, v36, v64, vcc
	v_pk_add_f32 v[20:21], v[20:21], v[2:3] neg_lo:[0,1] neg_hi:[0,1]
	v_pk_add_f32 v[18:19], v[18:19], v[62:63]
	v_cvt_f16_f32_e32 v64, v16
	v_pk_add_f32 v[18:19], v[16:17], v[18:19]
	v_mul_f32_e32 v16, 0x3fb8aa3b, v21
	v_fma_f32 v62, v21, s25, -v16
	v_rndne_f32_e32 v63, v16
	v_fmac_f32_e32 v62, 0x32a5705f, v21
	v_sub_f32_e32 v16, v16, v63
	v_add_f32_e32 v16, v16, v62
	v_cvt_i32_f32_e32 v62, v63
	v_mul_f32_e32 v63, 0x3fb8aa3b, v20
	v_cvt_f16_f32_e32 v53, v66
	v_fma_f32 v65, v20, s25, -v63
	v_rndne_f32_e32 v66, v63
	v_fmac_f32_e32 v65, 0x32a5705f, v20
	v_sub_f32_e32 v63, v63, v66
	v_exp_f32_e32 v16, v16
	v_add_f32_e32 v63, v63, v65
	v_exp_f32_e32 v63, v63
	v_cvt_i32_f32_e32 v65, v66
	v_ldexp_f32 v16, v16, v62
	v_cmp_ngt_f32_e32 vcc, s26, v21
	v_cndmask_b32_e32 v16, 0, v16, vcc
	v_ldexp_f32 v62, v63, v65
	v_cmp_ngt_f32_e32 vcc, s26, v20
	v_cndmask_b32_e32 v62, 0, v62, vcc
	v_cmp_nlt_f32_e32 vcc, s27, v20
	v_cndmask_b32_e32 v20, v36, v62, vcc
	v_cmp_nlt_f32_e32 vcc, s27, v21
	v_cvt_f16_f32_e32 v70, v67
	v_cndmask_b32_e32 v21, v36, v16, vcc
	v_cvt_f16_f32_e32 v16, v17
	v_pk_fma_f32 v[4:5], v[4:5], v[20:21], v[18:19]
	v_add_u32_e32 v17, v28, v22
	v_pack_b32_f16 v18, v72, v69
	v_pack_b32_f16 v19, v53, v70
	;; [unrolled: 1-line block ×3, first 2 shown]
	ds_write2_b32 v17, v18, v19 offset1:32
	ds_write2_b32 v17, v46, v16 offset0:64 offset1:96
	s_waitcnt vmcnt(1)
	ds_write_b128 v29, v[54:57]
	s_waitcnt vmcnt(0)
	ds_write_b128 v30, v[58:61]
	s_waitcnt lgkmcnt(0)
	s_barrier
	ds_read2_b64 v[16:19], v31 offset1:32
	ds_read_b128 v[54:57], v28
	v_cvt_f16_f32_e32 v71, v20
	v_cvt_f16_f32_e32 v20, v21
	ds_read_b128 v[58:61], v28 offset:16
	ds_read_b128 v[62:65], v28 offset:32
	;; [unrolled: 1-line block ×3, first 2 shown]
	s_or_b32 s10, s6, 32
	v_pk_mul_f16 v21, v71, v44 op_sel_hi:[0,1]
	v_pk_mul_f16 v44, v20, v39 op_sel_hi:[0,1]
	s_waitcnt lgkmcnt(3)
	v_pk_mul_f16 v39, v16, v54 op_sel_hi:[1,0]
	v_pk_mul_f16 v16, v16, v54 op_sel:[0,1]
	v_pk_mul_f16 v40, v20, v40 op_sel_hi:[0,1]
	v_pk_mul_f16 v37, v20, v37 op_sel_hi:[0,1]
	v_pk_fma_f16 v16, v20, v38, v16 op_sel_hi:[0,1,1]
	v_pk_mul_f16 v20, v17, v54 op_sel_hi:[1,0]
	v_pk_fma_f16 v42, v71, v42, v39 op_sel_hi:[0,1,1]
	v_pk_fma_f16 v20, v71, v41, v20 op_sel_hi:[0,1,1]
	v_pk_fma_f16 v17, v17, v54, v40 op_sel:[0,1,0]
	ds_read2_b64 v[38:41], v31 offset0:64 offset1:96
	v_pk_mul_f16 v43, v71, v43 op_sel_hi:[0,1]
	v_pk_fma_f16 v21, v18, v54, v21 op_sel_hi:[1,0,1]
	v_pk_fma_f16 v44, v18, v54, v44 op_sel:[0,1,0]
	v_pk_fma_f16 v43, v19, v54, v43 op_sel_hi:[1,0,1]
	v_pk_fma_f16 v37, v19, v54, v37 op_sel:[0,1,0]
	s_waitcnt lgkmcnt(0)
	v_pk_fma_f16 v42, v38, v55, v42 op_sel_hi:[1,0,1]
	v_pk_fma_f16 v38, v38, v55, v16 op_sel:[0,1,0]
	v_pk_fma_f16 v20, v39, v55, v20 op_sel_hi:[1,0,1]
	v_pk_fma_f16 v39, v39, v55, v17 op_sel:[0,1,0]
	ds_read2_b64 v[16:19], v31 offset0:128 offset1:160
	v_pk_fma_f16 v21, v40, v55, v21 op_sel_hi:[1,0,1]
	v_pk_fma_f16 v44, v40, v55, v44 op_sel:[0,1,0]
	v_pk_fma_f16 v43, v41, v55, v43 op_sel_hi:[1,0,1]
	v_pk_fma_f16 v37, v41, v55, v37 op_sel:[0,1,0]
	s_waitcnt lgkmcnt(0)
	v_pk_fma_f16 v42, v16, v56, v42 op_sel_hi:[1,0,1]
	v_pk_fma_f16 v16, v16, v56, v38 op_sel:[0,1,0]
	v_pk_fma_f16 v20, v17, v56, v20 op_sel_hi:[1,0,1]
	v_pk_fma_f16 v17, v17, v56, v39 op_sel:[0,1,0]
	ds_read2_b64 v[38:41], v31 offset0:192 offset1:224
	v_pk_fma_f16 v43, v19, v56, v43 op_sel_hi:[1,0,1]
	v_pk_fma_f16 v37, v19, v56, v37 op_sel:[0,1,0]
	v_add_u32_e32 v19, 0x800, v31
	v_pk_fma_f16 v21, v18, v56, v21 op_sel_hi:[1,0,1]
	v_pk_fma_f16 v18, v18, v56, v44 op_sel:[0,1,0]
	ds_read2_b64 v[70:73], v19 offset1:32
	s_waitcnt lgkmcnt(1)
	v_pk_fma_f16 v42, v38, v57, v42 op_sel_hi:[1,0,1]
	v_pk_fma_f16 v16, v38, v57, v16 op_sel:[0,1,0]
	v_pk_fma_f16 v20, v39, v57, v20 op_sel_hi:[1,0,1]
	v_pk_fma_f16 v17, v39, v57, v17 op_sel:[0,1,0]
	v_pk_fma_f16 v21, v40, v57, v21 op_sel_hi:[1,0,1]
	v_pk_fma_f16 v18, v40, v57, v18 op_sel:[0,1,0]
	v_pk_fma_f16 v43, v41, v57, v43 op_sel_hi:[1,0,1]
	v_pk_fma_f16 v37, v41, v57, v37 op_sel:[0,1,0]
	ds_read2_b64 v[38:41], v19 offset0:64 offset1:96
	s_waitcnt lgkmcnt(1)
	v_pk_fma_f16 v42, v70, v58, v42 op_sel_hi:[1,0,1]
	v_pk_fma_f16 v16, v70, v58, v16 op_sel:[0,1,0]
	v_pk_fma_f16 v20, v71, v58, v20 op_sel_hi:[1,0,1]
	v_pk_fma_f16 v17, v71, v58, v17 op_sel:[0,1,0]
	v_pk_fma_f16 v21, v72, v58, v21 op_sel_hi:[1,0,1]
	v_pk_fma_f16 v18, v72, v58, v18 op_sel:[0,1,0]
	v_pk_fma_f16 v43, v73, v58, v43 op_sel_hi:[1,0,1]
	v_pk_fma_f16 v37, v73, v58, v37 op_sel:[0,1,0]
	ds_read2_b64 v[54:57], v19 offset0:128 offset1:160
	;; [unrolled: 10-line block ×3, first 2 shown]
	s_waitcnt lgkmcnt(1)
	v_pk_fma_f16 v42, v54, v60, v42 op_sel_hi:[1,0,1]
	v_pk_fma_f16 v16, v54, v60, v16 op_sel:[0,1,0]
	v_pk_fma_f16 v20, v55, v60, v20 op_sel_hi:[1,0,1]
	v_pk_fma_f16 v17, v55, v60, v17 op_sel:[0,1,0]
	s_waitcnt lgkmcnt(0)
	v_pk_fma_f16 v42, v38, v61, v42 op_sel_hi:[1,0,1]
	v_pk_fma_f16 v16, v38, v61, v16 op_sel:[0,1,0]
	v_pk_fma_f16 v38, v39, v61, v20 op_sel_hi:[1,0,1]
	v_add_u32_e32 v20, 0x1000, v31
	v_pk_fma_f16 v21, v56, v60, v21 op_sel_hi:[1,0,1]
	v_pk_fma_f16 v18, v56, v60, v18 op_sel:[0,1,0]
	v_pk_fma_f16 v43, v57, v60, v43 op_sel_hi:[1,0,1]
	v_pk_fma_f16 v37, v57, v60, v37 op_sel:[0,1,0]
	ds_read2_b64 v[54:57], v20 offset1:32
	v_pk_fma_f16 v17, v39, v61, v17 op_sel:[0,1,0]
	v_pk_fma_f16 v21, v40, v61, v21 op_sel_hi:[1,0,1]
	v_pk_fma_f16 v18, v40, v61, v18 op_sel:[0,1,0]
	v_pk_fma_f16 v43, v41, v61, v43 op_sel_hi:[1,0,1]
	v_pk_fma_f16 v37, v41, v61, v37 op_sel:[0,1,0]
	s_waitcnt lgkmcnt(0)
	v_pk_fma_f16 v44, v55, v62, v38 op_sel_hi:[1,0,1]
	ds_read2_b64 v[38:41], v20 offset0:64 offset1:96
	v_pk_fma_f16 v42, v54, v62, v42 op_sel_hi:[1,0,1]
	v_pk_fma_f16 v16, v54, v62, v16 op_sel:[0,1,0]
	v_pk_fma_f16 v17, v55, v62, v17 op_sel:[0,1,0]
	v_pk_fma_f16 v21, v56, v62, v21 op_sel_hi:[1,0,1]
	v_pk_fma_f16 v18, v56, v62, v18 op_sel:[0,1,0]
	v_pk_fma_f16 v43, v57, v62, v43 op_sel_hi:[1,0,1]
	v_pk_fma_f16 v37, v57, v62, v37 op_sel:[0,1,0]
	ds_read2_b64 v[54:57], v20 offset0:128 offset1:160
	s_waitcnt lgkmcnt(1)
	v_pk_fma_f16 v42, v38, v63, v42 op_sel_hi:[1,0,1]
	v_pk_fma_f16 v16, v38, v63, v16 op_sel:[0,1,0]
	v_pk_fma_f16 v38, v39, v63, v44 op_sel_hi:[1,0,1]
	v_pk_fma_f16 v21, v40, v63, v21 op_sel_hi:[1,0,1]
	v_pk_fma_f16 v17, v39, v63, v17 op_sel:[0,1,0]
	v_pk_fma_f16 v18, v40, v63, v18 op_sel:[0,1,0]
	v_pk_fma_f16 v43, v41, v63, v43 op_sel_hi:[1,0,1]
	v_pk_fma_f16 v37, v41, v63, v37 op_sel:[0,1,0]
	s_waitcnt lgkmcnt(0)
	v_pk_fma_f16 v44, v55, v64, v38 op_sel_hi:[1,0,1]
	ds_read2_b64 v[38:41], v20 offset0:192 offset1:224
	v_pk_fma_f16 v46, v56, v64, v21 op_sel_hi:[1,0,1]
	v_add_u32_e32 v21, 0x1800, v31
	v_pk_fma_f16 v42, v54, v64, v42 op_sel_hi:[1,0,1]
	v_pk_fma_f16 v16, v54, v64, v16 op_sel:[0,1,0]
	v_pk_fma_f16 v17, v55, v64, v17 op_sel:[0,1,0]
	;; [unrolled: 1-line block ×3, first 2 shown]
	v_pk_fma_f16 v43, v57, v64, v43 op_sel_hi:[1,0,1]
	v_pk_fma_f16 v37, v57, v64, v37 op_sel:[0,1,0]
	ds_read2_b64 v[54:57], v21 offset1:32
	s_waitcnt lgkmcnt(1)
	v_pk_fma_f16 v42, v38, v65, v42 op_sel_hi:[1,0,1]
	v_pk_fma_f16 v16, v38, v65, v16 op_sel:[0,1,0]
	v_pk_fma_f16 v38, v39, v65, v44 op_sel_hi:[1,0,1]
	v_pk_fma_f16 v17, v39, v65, v17 op_sel:[0,1,0]
	;; [unrolled: 2-line block ×4, first 2 shown]
	s_waitcnt lgkmcnt(0)
	v_pk_fma_f16 v46, v55, v66, v38 op_sel_hi:[1,0,1]
	ds_read2_b64 v[38:41], v21 offset0:64 offset1:96
	v_pk_fma_f16 v42, v54, v66, v42 op_sel_hi:[1,0,1]
	v_pk_fma_f16 v16, v54, v66, v16 op_sel:[0,1,0]
	v_pk_fma_f16 v17, v55, v66, v17 op_sel:[0,1,0]
	v_pk_fma_f16 v44, v56, v66, v44 op_sel_hi:[1,0,1]
	v_pk_fma_f16 v18, v56, v66, v18 op_sel:[0,1,0]
	v_pk_fma_f16 v43, v57, v66, v43 op_sel_hi:[1,0,1]
	v_pk_fma_f16 v37, v57, v66, v37 op_sel:[0,1,0]
	ds_read2_b64 v[54:57], v21 offset0:128 offset1:160
	s_waitcnt lgkmcnt(1)
	v_pk_fma_f16 v42, v38, v67, v42 op_sel_hi:[1,0,1]
	v_pk_fma_f16 v16, v38, v67, v16 op_sel:[0,1,0]
	v_pk_fma_f16 v38, v39, v67, v46 op_sel_hi:[1,0,1]
	v_pk_fma_f16 v18, v40, v67, v18 op_sel:[0,1,0]
	v_pk_fma_f16 v17, v39, v67, v17 op_sel:[0,1,0]
	v_pk_fma_f16 v44, v40, v67, v44 op_sel_hi:[1,0,1]
	v_pk_fma_f16 v43, v41, v67, v43 op_sel_hi:[1,0,1]
	v_pk_fma_f16 v37, v41, v67, v37 op_sel:[0,1,0]
	s_waitcnt lgkmcnt(0)
	v_pk_fma_f16 v46, v55, v68, v38 op_sel_hi:[1,0,1]
	ds_read2_b64 v[38:41], v21 offset0:192 offset1:224
	v_pk_fma_f16 v53, v56, v68, v18 op_sel:[0,1,0]
	v_add_u32_e32 v18, 0x2000, v31
	v_pk_fma_f16 v42, v54, v68, v42 op_sel_hi:[1,0,1]
	v_pk_fma_f16 v16, v54, v68, v16 op_sel:[0,1,0]
	v_pk_fma_f16 v17, v55, v68, v17 op_sel:[0,1,0]
	v_pk_fma_f16 v44, v56, v68, v44 op_sel_hi:[1,0,1]
	v_pk_fma_f16 v43, v57, v68, v43 op_sel_hi:[1,0,1]
	v_pk_fma_f16 v37, v57, v68, v37 op_sel:[0,1,0]
	ds_read2_b64 v[54:57], v18 offset1:32
	ds_read_b128 v[58:61], v28 offset:64
	s_waitcnt lgkmcnt(2)
	v_pk_fma_f16 v42, v38, v69, v42 op_sel_hi:[1,0,1]
	v_pk_fma_f16 v16, v38, v69, v16 op_sel:[0,1,0]
	v_pk_fma_f16 v46, v39, v69, v46 op_sel_hi:[1,0,1]
	v_pk_fma_f16 v17, v39, v69, v17 op_sel:[0,1,0]
	;; [unrolled: 2-line block ×4, first 2 shown]
	ds_read2_b64 v[62:65], v18 offset0:64 offset1:96
	s_waitcnt lgkmcnt(1)
	v_pk_fma_f16 v42, v54, v58, v42 op_sel_hi:[1,0,1]
	v_pk_fma_f16 v16, v54, v58, v16 op_sel:[0,1,0]
	v_pk_fma_f16 v46, v55, v58, v46 op_sel_hi:[1,0,1]
	v_pk_fma_f16 v17, v55, v58, v17 op_sel:[0,1,0]
	;; [unrolled: 2-line block ×4, first 2 shown]
	ds_read2_b64 v[54:57], v18 offset0:128 offset1:160
	s_waitcnt lgkmcnt(1)
	v_pk_fma_f16 v37, v65, v59, v37 op_sel:[0,1,0]
	v_pk_fma_f16 v42, v62, v59, v42 op_sel_hi:[1,0,1]
	v_pk_fma_f16 v16, v62, v59, v16 op_sel:[0,1,0]
	v_pk_fma_f16 v46, v63, v59, v46 op_sel_hi:[1,0,1]
	;; [unrolled: 2-line block ×4, first 2 shown]
	ds_read2_b64 v[62:65], v18 offset0:192 offset1:224
	s_waitcnt lgkmcnt(1)
	v_pk_fma_f16 v58, v57, v60, v37 op_sel:[0,1,0]
	v_add_u32_e32 v37, 0x2800, v31
	ds_read_b128 v[38:41], v28 offset:80
	v_pk_fma_f16 v42, v54, v60, v42 op_sel_hi:[1,0,1]
	v_pk_fma_f16 v16, v54, v60, v16 op_sel:[0,1,0]
	v_pk_fma_f16 v46, v55, v60, v46 op_sel_hi:[1,0,1]
	v_pk_fma_f16 v17, v55, v60, v17 op_sel:[0,1,0]
	;; [unrolled: 2-line block ×3, first 2 shown]
	v_pk_fma_f16 v43, v57, v60, v43 op_sel_hi:[1,0,1]
	ds_read2_b64 v[54:57], v37 offset1:32
	s_waitcnt lgkmcnt(2)
	v_pk_fma_f16 v42, v62, v61, v42 op_sel_hi:[1,0,1]
	v_pk_fma_f16 v16, v62, v61, v16 op_sel:[0,1,0]
	v_pk_fma_f16 v46, v63, v61, v46 op_sel_hi:[1,0,1]
	v_pk_fma_f16 v17, v63, v61, v17 op_sel:[0,1,0]
	;; [unrolled: 2-line block ×4, first 2 shown]
	ds_read2_b64 v[58:61], v37 offset0:64 offset1:96
	s_waitcnt lgkmcnt(1)
	v_pk_fma_f16 v42, v54, v38, v42 op_sel_hi:[1,0,1]
	v_pk_fma_f16 v16, v54, v38, v16 op_sel:[0,1,0]
	v_pk_fma_f16 v46, v55, v38, v46 op_sel_hi:[1,0,1]
	v_pk_fma_f16 v17, v55, v38, v17 op_sel:[0,1,0]
	;; [unrolled: 2-line block ×4, first 2 shown]
	ds_read2_b64 v[54:57], v37 offset0:128 offset1:160
	s_mul_hi_i32 s11, s10, s14
	s_mul_i32 s10, s10, s14
	s_lshl_b64 s[10:11], s[10:11], 2
	s_add_u32 s10, s12, s10
	s_addc_u32 s11, s13, s11
	s_waitcnt lgkmcnt(1)
	v_pk_fma_f16 v42, v58, v39, v42 op_sel_hi:[1,0,1]
	v_pk_fma_f16 v110, v58, v39, v16 op_sel:[0,1,0]
	v_pk_fma_f16 v46, v59, v39, v46 op_sel_hi:[1,0,1]
	v_pk_fma_f16 v111, v59, v39, v17 op_sel:[0,1,0]
	;; [unrolled: 2-line block ×4, first 2 shown]
	v_mov_b32_e32 v38, s11
	v_add_co_u32_e32 v39, vcc, s10, v12
	s_waitcnt lgkmcnt(0)
	v_pk_fma_f16 v114, v54, v40, v42 op_sel_hi:[1,0,1]
	v_addc_co_u32_e32 v42, vcc, v38, v13, vcc
	v_add_co_u32_e32 v38, vcc, v39, v45
	v_addc_co_u32_e32 v39, vcc, 0, v42, vcc
	v_mov_b32_e32 v42, s11
	v_add_co_u32_e32 v43, vcc, s10, v14
	v_addc_co_u32_e32 v102, vcc, v42, v15, vcc
	v_add_u32_e32 v17, 0x3000, v31
	v_add_u32_e32 v16, 0x3800, v31
	v_add_co_u32_e32 v42, vcc, v43, v45
	ds_read2_b64 v[58:61], v37 offset0:192 offset1:224
	ds_read2_b64 v[62:65], v17 offset1:32
	ds_read2_b64 v[66:69], v17 offset0:64 offset1:96
	ds_read2_b64 v[70:73], v17 offset0:128 offset1:160
	;; [unrolled: 1-line block ×3, first 2 shown]
	ds_read2_b64 v[78:81], v16 offset1:32
	ds_read_b128 v[82:85], v28 offset:96
	ds_read_b128 v[86:89], v28 offset:112
	ds_read2_b64 v[90:93], v16 offset0:64 offset1:96
	ds_read2_b64 v[94:97], v16 offset0:128 offset1:160
	;; [unrolled: 1-line block ×3, first 2 shown]
	s_waitcnt lgkmcnt(0)
	s_barrier
	v_addc_co_u32_e32 v43, vcc, 0, v102, vcc
	global_load_dwordx4 v[102:105], v[38:39], off
	global_load_dwordx4 v[106:109], v[42:43], off
	v_pk_fma_f16 v38, v54, v40, v110 op_sel:[0,1,0]
	v_pk_fma_f16 v39, v55, v40, v46 op_sel_hi:[1,0,1]
	v_pk_fma_f16 v42, v55, v40, v111 op_sel:[0,1,0]
	v_pk_fma_f16 v43, v56, v40, v44 op_sel_hi:[1,0,1]
	;; [unrolled: 2-line block ×18, first 2 shown]
	v_pk_fma_f16 v44, v64, v82, v44 op_sel:[0,1,0]
	v_pk_fma_f16 v40, v81, v86, v40 op_sel:[0,1,0]
	v_pk_fma_f16 v41, v90, v87, v41 op_sel_hi:[1,0,1]
	v_pk_fma_f16 v38, v90, v87, v38 op_sel:[0,1,0]
	v_pk_fma_f16 v39, v91, v87, v39 op_sel_hi:[1,0,1]
	;; [unrolled: 2-line block ×3, first 2 shown]
	v_pk_fma_f16 v44, v68, v83, v44 op_sel:[0,1,0]
	v_pk_fma_f16 v40, v93, v87, v40 op_sel:[0,1,0]
	v_pk_fma_f16 v41, v94, v88, v41 op_sel_hi:[1,0,1]
	v_pk_fma_f16 v38, v94, v88, v38 op_sel:[0,1,0]
	v_pk_fma_f16 v39, v95, v88, v39 op_sel_hi:[1,0,1]
	;; [unrolled: 2-line block ×3, first 2 shown]
	v_pk_fma_f16 v44, v72, v84, v44 op_sel:[0,1,0]
	v_pk_fma_f16 v53, v97, v88, v40 op_sel:[0,1,0]
	v_pk_fma_f16 v70, v98, v89, v41 op_sel_hi:[1,0,1]
	v_pk_fma_f16 v71, v98, v89, v38 op_sel:[0,1,0]
	v_pk_fma_f16 v72, v99, v89, v39 op_sel_hi:[1,0,1]
	s_waitcnt vmcnt(1)
	ds_write_b128 v29, v[102:105]
	s_waitcnt vmcnt(0)
	ds_write_b128 v30, v[106:109]
	s_waitcnt lgkmcnt(0)
	s_barrier
	ds_read2_b64 v[38:41], v31 offset1:32
	ds_read_b128 v[54:57], v28 offset:128
	v_pk_fma_f16 v46, v65, v82, v46 op_sel_hi:[1,0,1]
	v_pk_fma_f16 v46, v69, v83, v46 op_sel_hi:[1,0,1]
	v_pk_fma_f16 v46, v73, v84, v46 op_sel_hi:[1,0,1]
	v_pk_fma_f16 v42, v75, v85, v42 op_sel:[0,1,0]
	v_pk_fma_f16 v43, v76, v85, v43 op_sel_hi:[1,0,1]
	v_pk_fma_f16 v44, v76, v85, v44 op_sel:[0,1,0]
	v_pk_fma_f16 v46, v77, v85, v46 op_sel_hi:[1,0,1]
	v_pk_fma_f16 v42, v79, v86, v42 op_sel:[0,1,0]
	ds_read_b128 v[58:61], v28 offset:144
	ds_read_b128 v[62:65], v28 offset:160
	;; [unrolled: 1-line block ×3, first 2 shown]
	s_waitcnt lgkmcnt(3)
	v_pk_fma_f16 v74, v38, v54, v70 op_sel_hi:[1,0,1]
	v_pk_fma_f16 v38, v38, v54, v71 op_sel:[0,1,0]
	v_pk_fma_f16 v75, v39, v54, v72 op_sel_hi:[1,0,1]
	ds_read2_b64 v[70:73], v31 offset0:64 offset1:96
	v_pk_fma_f16 v43, v80, v86, v43 op_sel_hi:[1,0,1]
	v_pk_fma_f16 v44, v80, v86, v44 op_sel:[0,1,0]
	v_pk_fma_f16 v46, v81, v86, v46 op_sel_hi:[1,0,1]
	v_pk_fma_f16 v42, v91, v87, v42 op_sel:[0,1,0]
	;; [unrolled: 2-line block ×8, first 2 shown]
	v_pk_fma_f16 v39, v39, v54, v42 op_sel:[0,1,0]
	v_pk_fma_f16 v42, v40, v54, v43 op_sel_hi:[1,0,1]
	v_pk_fma_f16 v43, v40, v54, v44 op_sel:[0,1,0]
	v_pk_fma_f16 v44, v41, v54, v46 op_sel_hi:[1,0,1]
	v_pk_fma_f16 v46, v41, v54, v53 op_sel:[0,1,0]
	s_waitcnt lgkmcnt(0)
	v_pk_fma_f16 v53, v70, v55, v74 op_sel_hi:[1,0,1]
	v_pk_fma_f16 v54, v70, v55, v38 op_sel:[0,1,0]
	v_pk_fma_f16 v70, v71, v55, v75 op_sel_hi:[1,0,1]
	v_pk_fma_f16 v71, v71, v55, v39 op_sel:[0,1,0]
	ds_read2_b64 v[38:41], v31 offset0:128 offset1:160
	v_pk_fma_f16 v42, v72, v55, v42 op_sel_hi:[1,0,1]
	v_pk_fma_f16 v43, v72, v55, v43 op_sel:[0,1,0]
	v_pk_fma_f16 v44, v73, v55, v44 op_sel_hi:[1,0,1]
	v_pk_fma_f16 v46, v73, v55, v46 op_sel:[0,1,0]
	s_waitcnt lgkmcnt(0)
	v_pk_fma_f16 v53, v38, v56, v53 op_sel_hi:[1,0,1]
	v_pk_fma_f16 v38, v38, v56, v54 op_sel:[0,1,0]
	v_pk_fma_f16 v54, v39, v56, v70 op_sel_hi:[1,0,1]
	v_pk_fma_f16 v39, v39, v56, v71 op_sel:[0,1,0]
	ds_read2_b64 v[70:73], v31 offset0:192 offset1:224
	v_pk_fma_f16 v42, v40, v56, v42 op_sel_hi:[1,0,1]
	v_pk_fma_f16 v43, v40, v56, v43 op_sel:[0,1,0]
	v_pk_fma_f16 v44, v41, v56, v44 op_sel_hi:[1,0,1]
	v_pk_fma_f16 v46, v41, v56, v46 op_sel:[0,1,0]
	s_waitcnt lgkmcnt(0)
	v_pk_fma_f16 v55, v70, v57, v38 op_sel:[0,1,0]
	v_pk_fma_f16 v56, v71, v57, v39 op_sel:[0,1,0]
	ds_read2_b64 v[38:41], v19 offset1:32
	v_pk_fma_f16 v53, v70, v57, v53 op_sel_hi:[1,0,1]
	v_pk_fma_f16 v54, v71, v57, v54 op_sel_hi:[1,0,1]
	;; [unrolled: 1-line block ×3, first 2 shown]
	v_pk_fma_f16 v43, v72, v57, v43 op_sel:[0,1,0]
	v_pk_fma_f16 v44, v73, v57, v44 op_sel_hi:[1,0,1]
	v_pk_fma_f16 v46, v73, v57, v46 op_sel:[0,1,0]
	s_waitcnt lgkmcnt(0)
	v_pk_fma_f16 v53, v38, v58, v53 op_sel_hi:[1,0,1]
	v_pk_fma_f16 v38, v38, v58, v55 op_sel:[0,1,0]
	v_pk_fma_f16 v70, v39, v58, v54 op_sel_hi:[1,0,1]
	v_pk_fma_f16 v39, v39, v58, v56 op_sel:[0,1,0]
	ds_read2_b64 v[54:57], v19 offset0:64 offset1:96
	v_pk_fma_f16 v42, v40, v58, v42 op_sel_hi:[1,0,1]
	v_pk_fma_f16 v43, v40, v58, v43 op_sel:[0,1,0]
	v_pk_fma_f16 v44, v41, v58, v44 op_sel_hi:[1,0,1]
	v_pk_fma_f16 v46, v41, v58, v46 op_sel:[0,1,0]
	s_waitcnt lgkmcnt(0)
	v_pk_fma_f16 v53, v54, v59, v53 op_sel_hi:[1,0,1]
	v_pk_fma_f16 v54, v54, v59, v38 op_sel:[0,1,0]
	v_pk_fma_f16 v58, v55, v59, v70 op_sel_hi:[1,0,1]
	v_pk_fma_f16 v55, v55, v59, v39 op_sel:[0,1,0]
	ds_read2_b64 v[38:41], v19 offset0:128 offset1:160
	v_pk_fma_f16 v42, v56, v59, v42 op_sel_hi:[1,0,1]
	;; [unrolled: 10-line block ×3, first 2 shown]
	v_pk_fma_f16 v43, v40, v60, v43 op_sel:[0,1,0]
	v_pk_fma_f16 v44, v41, v60, v44 op_sel_hi:[1,0,1]
	v_pk_fma_f16 v46, v41, v60, v46 op_sel:[0,1,0]
	s_waitcnt lgkmcnt(0)
	v_pk_fma_f16 v53, v54, v61, v53 op_sel_hi:[1,0,1]
	v_pk_fma_f16 v54, v54, v61, v38 op_sel:[0,1,0]
	v_pk_fma_f16 v58, v55, v61, v58 op_sel_hi:[1,0,1]
	v_pk_fma_f16 v55, v55, v61, v39 op_sel:[0,1,0]
	ds_read2_b64 v[38:41], v20 offset1:32
	v_pk_fma_f16 v42, v56, v61, v42 op_sel_hi:[1,0,1]
	v_pk_fma_f16 v43, v56, v61, v43 op_sel:[0,1,0]
	v_pk_fma_f16 v44, v57, v61, v44 op_sel_hi:[1,0,1]
	v_pk_fma_f16 v46, v57, v61, v46 op_sel:[0,1,0]
	s_waitcnt lgkmcnt(0)
	v_pk_fma_f16 v53, v38, v62, v53 op_sel_hi:[1,0,1]
	v_pk_fma_f16 v38, v38, v62, v54 op_sel:[0,1,0]
	v_pk_fma_f16 v58, v39, v62, v58 op_sel_hi:[1,0,1]
	v_pk_fma_f16 v39, v39, v62, v55 op_sel:[0,1,0]
	ds_read2_b64 v[54:57], v20 offset0:64 offset1:96
	v_pk_fma_f16 v42, v40, v62, v42 op_sel_hi:[1,0,1]
	v_pk_fma_f16 v43, v40, v62, v43 op_sel:[0,1,0]
	v_pk_fma_f16 v44, v41, v62, v44 op_sel_hi:[1,0,1]
	v_pk_fma_f16 v46, v41, v62, v46 op_sel:[0,1,0]
	s_waitcnt lgkmcnt(0)
	v_pk_fma_f16 v53, v54, v63, v53 op_sel_hi:[1,0,1]
	v_pk_fma_f16 v54, v54, v63, v38 op_sel:[0,1,0]
	v_pk_fma_f16 v58, v55, v63, v58 op_sel_hi:[1,0,1]
	v_pk_fma_f16 v55, v55, v63, v39 op_sel:[0,1,0]
	ds_read2_b64 v[38:41], v20 offset0:128 offset1:160
	;; [unrolled: 10-line block ×3, first 2 shown]
	v_pk_fma_f16 v42, v40, v64, v42 op_sel_hi:[1,0,1]
	v_pk_fma_f16 v43, v40, v64, v43 op_sel:[0,1,0]
	v_pk_fma_f16 v44, v41, v64, v44 op_sel_hi:[1,0,1]
	v_pk_fma_f16 v46, v41, v64, v46 op_sel:[0,1,0]
	s_waitcnt lgkmcnt(0)
	v_pk_fma_f16 v53, v54, v65, v53 op_sel_hi:[1,0,1]
	v_pk_fma_f16 v54, v54, v65, v38 op_sel:[0,1,0]
	v_pk_fma_f16 v58, v55, v65, v58 op_sel_hi:[1,0,1]
	v_pk_fma_f16 v55, v55, v65, v39 op_sel:[0,1,0]
	ds_read2_b64 v[38:41], v21 offset1:32
	v_pk_fma_f16 v42, v56, v65, v42 op_sel_hi:[1,0,1]
	v_pk_fma_f16 v43, v56, v65, v43 op_sel:[0,1,0]
	v_pk_fma_f16 v44, v57, v65, v44 op_sel_hi:[1,0,1]
	v_pk_fma_f16 v46, v57, v65, v46 op_sel:[0,1,0]
	s_waitcnt lgkmcnt(0)
	v_pk_fma_f16 v53, v38, v66, v53 op_sel_hi:[1,0,1]
	v_pk_fma_f16 v38, v38, v66, v54 op_sel:[0,1,0]
	v_pk_fma_f16 v58, v39, v66, v58 op_sel_hi:[1,0,1]
	v_pk_fma_f16 v39, v39, v66, v55 op_sel:[0,1,0]
	ds_read2_b64 v[54:57], v21 offset0:64 offset1:96
	v_pk_fma_f16 v42, v40, v66, v42 op_sel_hi:[1,0,1]
	v_pk_fma_f16 v43, v40, v66, v43 op_sel:[0,1,0]
	v_pk_fma_f16 v44, v41, v66, v44 op_sel_hi:[1,0,1]
	v_pk_fma_f16 v46, v41, v66, v46 op_sel:[0,1,0]
	s_waitcnt lgkmcnt(0)
	v_pk_fma_f16 v53, v54, v67, v53 op_sel_hi:[1,0,1]
	v_pk_fma_f16 v54, v54, v67, v38 op_sel:[0,1,0]
	v_pk_fma_f16 v58, v55, v67, v58 op_sel_hi:[1,0,1]
	v_pk_fma_f16 v55, v55, v67, v39 op_sel:[0,1,0]
	ds_read2_b64 v[38:41], v21 offset0:128 offset1:160
	;; [unrolled: 10-line block ×3, first 2 shown]
	v_pk_fma_f16 v42, v40, v68, v42 op_sel_hi:[1,0,1]
	v_pk_fma_f16 v43, v40, v68, v43 op_sel:[0,1,0]
	v_pk_fma_f16 v44, v41, v68, v44 op_sel_hi:[1,0,1]
	v_pk_fma_f16 v46, v41, v68, v46 op_sel:[0,1,0]
	s_waitcnt lgkmcnt(0)
	v_pk_fma_f16 v62, v54, v69, v38 op_sel:[0,1,0]
	v_pk_fma_f16 v63, v55, v69, v58 op_sel_hi:[1,0,1]
	v_pk_fma_f16 v64, v55, v69, v39 op_sel:[0,1,0]
	ds_read2_b64 v[38:41], v18 offset1:32
	ds_read_b128 v[58:61], v28 offset:192
	v_pk_fma_f16 v53, v54, v69, v53 op_sel_hi:[1,0,1]
	v_pk_fma_f16 v42, v56, v69, v42 op_sel_hi:[1,0,1]
	v_pk_fma_f16 v43, v56, v69, v43 op_sel:[0,1,0]
	v_pk_fma_f16 v44, v57, v69, v44 op_sel_hi:[1,0,1]
	s_waitcnt lgkmcnt(0)
	v_pk_fma_f16 v53, v38, v58, v53 op_sel_hi:[1,0,1]
	v_pk_fma_f16 v38, v38, v58, v62 op_sel:[0,1,0]
	v_pk_fma_f16 v66, v39, v58, v63 op_sel_hi:[1,0,1]
	v_pk_fma_f16 v39, v39, v58, v64 op_sel:[0,1,0]
	ds_read2_b64 v[62:65], v18 offset0:64 offset1:96
	v_pk_fma_f16 v46, v57, v69, v46 op_sel:[0,1,0]
	v_pk_fma_f16 v42, v40, v58, v42 op_sel_hi:[1,0,1]
	v_pk_fma_f16 v43, v40, v58, v43 op_sel:[0,1,0]
	v_pk_fma_f16 v44, v41, v58, v44 op_sel_hi:[1,0,1]
	v_pk_fma_f16 v46, v41, v58, v46 op_sel:[0,1,0]
	s_waitcnt lgkmcnt(0)
	v_pk_fma_f16 v53, v62, v59, v53 op_sel_hi:[1,0,1]
	v_pk_fma_f16 v58, v62, v59, v38 op_sel:[0,1,0]
	v_pk_fma_f16 v62, v63, v59, v66 op_sel_hi:[1,0,1]
	v_pk_fma_f16 v63, v63, v59, v39 op_sel:[0,1,0]
	ds_read2_b64 v[38:41], v18 offset0:128 offset1:160
	v_pk_fma_f16 v42, v64, v59, v42 op_sel_hi:[1,0,1]
	v_pk_fma_f16 v43, v64, v59, v43 op_sel:[0,1,0]
	v_pk_fma_f16 v44, v65, v59, v44 op_sel_hi:[1,0,1]
	v_pk_fma_f16 v46, v65, v59, v46 op_sel:[0,1,0]
	s_waitcnt lgkmcnt(0)
	v_pk_fma_f16 v53, v38, v60, v53 op_sel_hi:[1,0,1]
	v_pk_fma_f16 v38, v38, v60, v58 op_sel:[0,1,0]
	v_pk_fma_f16 v58, v39, v60, v62 op_sel_hi:[1,0,1]
	v_pk_fma_f16 v39, v39, v60, v63 op_sel:[0,1,0]
	ds_read2_b64 v[62:65], v18 offset0:192 offset1:224
	ds_read_b128 v[54:57], v28 offset:208
	v_pk_fma_f16 v42, v40, v60, v42 op_sel_hi:[1,0,1]
	v_pk_fma_f16 v43, v40, v60, v43 op_sel:[0,1,0]
	v_pk_fma_f16 v44, v41, v60, v44 op_sel_hi:[1,0,1]
	v_pk_fma_f16 v46, v41, v60, v46 op_sel:[0,1,0]
	s_waitcnt lgkmcnt(1)
	v_pk_fma_f16 v59, v62, v61, v38 op_sel:[0,1,0]
	v_pk_fma_f16 v60, v63, v61, v39 op_sel:[0,1,0]
	ds_read2_b64 v[38:41], v37 offset1:32
	v_pk_fma_f16 v53, v62, v61, v53 op_sel_hi:[1,0,1]
	v_pk_fma_f16 v58, v63, v61, v58 op_sel_hi:[1,0,1]
	;; [unrolled: 1-line block ×3, first 2 shown]
	v_pk_fma_f16 v43, v64, v61, v43 op_sel:[0,1,0]
	v_pk_fma_f16 v44, v65, v61, v44 op_sel_hi:[1,0,1]
	v_pk_fma_f16 v46, v65, v61, v46 op_sel:[0,1,0]
	s_waitcnt lgkmcnt(0)
	v_pk_fma_f16 v53, v38, v54, v53 op_sel_hi:[1,0,1]
	v_pk_fma_f16 v38, v38, v54, v59 op_sel:[0,1,0]
	v_pk_fma_f16 v62, v39, v54, v58 op_sel_hi:[1,0,1]
	v_pk_fma_f16 v39, v39, v54, v60 op_sel:[0,1,0]
	ds_read2_b64 v[58:61], v37 offset0:64 offset1:96
	s_or_b32 s10, s6, 64
	s_mul_hi_i32 s11, s10, s14
	s_mul_i32 s10, s10, s14
	s_lshl_b64 s[10:11], s[10:11], 2
	s_add_u32 s10, s12, s10
	v_pk_fma_f16 v42, v40, v54, v42 op_sel_hi:[1,0,1]
	v_pk_fma_f16 v43, v40, v54, v43 op_sel:[0,1,0]
	s_addc_u32 s11, s13, s11
	s_waitcnt lgkmcnt(0)
	v_pk_fma_f16 v113, v60, v55, v42 op_sel_hi:[1,0,1]
	v_pk_fma_f16 v114, v60, v55, v43 op_sel:[0,1,0]
	v_mov_b32_e32 v42, s11
	v_add_co_u32_e32 v43, vcc, s10, v12
	v_pk_fma_f16 v44, v41, v54, v44 op_sel_hi:[1,0,1]
	v_pk_fma_f16 v46, v41, v54, v46 op_sel:[0,1,0]
	v_addc_co_u32_e32 v54, vcc, v42, v13, vcc
	v_add_co_u32_e32 v42, vcc, v43, v45
	v_addc_co_u32_e32 v43, vcc, 0, v54, vcc
	v_pk_fma_f16 v53, v58, v55, v53 op_sel_hi:[1,0,1]
	v_pk_fma_f16 v110, v58, v55, v38 op_sel:[0,1,0]
	v_pk_fma_f16 v111, v59, v55, v62 op_sel_hi:[1,0,1]
	v_pk_fma_f16 v112, v59, v55, v39 op_sel:[0,1,0]
	;; [unrolled: 2-line block ×3, first 2 shown]
	v_mov_b32_e32 v54, s11
	v_add_co_u32_e32 v55, vcc, s10, v14
	v_addc_co_u32_e32 v102, vcc, v54, v15, vcc
	v_add_co_u32_e32 v54, vcc, v55, v45
	ds_read2_b64 v[38:41], v37 offset0:128 offset1:160
	ds_read2_b64 v[58:61], v37 offset0:192 offset1:224
	ds_read2_b64 v[62:65], v17 offset1:32
	ds_read2_b64 v[66:69], v17 offset0:64 offset1:96
	ds_read2_b64 v[70:73], v17 offset0:128 offset1:160
	ds_read2_b64 v[74:77], v17 offset0:192 offset1:224
	ds_read2_b64 v[78:81], v16 offset1:32
	ds_read_b128 v[82:85], v28 offset:224
	ds_read_b128 v[86:89], v28 offset:240
	ds_read2_b64 v[90:93], v16 offset0:64 offset1:96
	ds_read2_b64 v[94:97], v16 offset0:128 offset1:160
	;; [unrolled: 1-line block ×3, first 2 shown]
	s_waitcnt lgkmcnt(0)
	s_barrier
	v_addc_co_u32_e32 v55, vcc, 0, v102, vcc
	global_load_dwordx4 v[102:105], v[42:43], off
	global_load_dwordx4 v[106:109], v[54:55], off
	v_pk_fma_f16 v53, v38, v56, v53 op_sel_hi:[1,0,1]
	v_pk_fma_f16 v38, v38, v56, v110 op_sel:[0,1,0]
	v_pk_fma_f16 v42, v39, v56, v111 op_sel_hi:[1,0,1]
	v_pk_fma_f16 v39, v39, v56, v112 op_sel:[0,1,0]
	;; [unrolled: 2-line block ×4, first 2 shown]
	v_pk_fma_f16 v38, v58, v57, v38 op_sel:[0,1,0]
	v_pk_fma_f16 v39, v59, v57, v39 op_sel:[0,1,0]
	;; [unrolled: 1-line block ×15, first 2 shown]
	v_pk_fma_f16 v46, v58, v57, v53 op_sel_hi:[1,0,1]
	v_pk_fma_f16 v42, v59, v57, v42 op_sel_hi:[1,0,1]
	v_pk_fma_f16 v41, v73, v84, v41 op_sel:[0,1,0]
	v_pk_fma_f16 v38, v74, v85, v38 op_sel:[0,1,0]
	v_pk_fma_f16 v39, v75, v85, v39 op_sel:[0,1,0]
	v_pk_fma_f16 v40, v76, v85, v40 op_sel:[0,1,0]
	v_pk_fma_f16 v46, v62, v82, v46 op_sel_hi:[1,0,1]
	v_pk_fma_f16 v42, v63, v82, v42 op_sel_hi:[1,0,1]
	v_pk_fma_f16 v41, v77, v85, v41 op_sel:[0,1,0]
	v_pk_fma_f16 v38, v78, v86, v38 op_sel:[0,1,0]
	v_pk_fma_f16 v39, v79, v86, v39 op_sel:[0,1,0]
	v_pk_fma_f16 v40, v80, v86, v40 op_sel:[0,1,0]
	;; [unrolled: 6-line block ×4, first 2 shown]
	v_pk_fma_f16 v43, v60, v57, v43 op_sel_hi:[1,0,1]
	v_pk_fma_f16 v44, v61, v57, v44 op_sel_hi:[1,0,1]
	;; [unrolled: 1-line block ×4, first 2 shown]
	v_pk_fma_f16 v53, v97, v88, v41 op_sel:[0,1,0]
	v_pk_fma_f16 v70, v98, v89, v38 op_sel:[0,1,0]
	;; [unrolled: 1-line block ×4, first 2 shown]
	s_waitcnt vmcnt(1)
	ds_write_b128 v29, v[102:105]
	s_waitcnt vmcnt(0)
	ds_write_b128 v30, v[106:109]
	s_waitcnt lgkmcnt(0)
	s_barrier
	ds_read2_b64 v[38:41], v31 offset1:32
	ds_read_b128 v[54:57], v28 offset:256
	v_pk_fma_f16 v46, v78, v86, v46 op_sel_hi:[1,0,1]
	v_pk_fma_f16 v42, v79, v86, v42 op_sel_hi:[1,0,1]
	;; [unrolled: 1-line block ×16, first 2 shown]
	ds_read_b128 v[58:61], v28 offset:272
	ds_read_b128 v[62:65], v28 offset:288
	;; [unrolled: 1-line block ×3, first 2 shown]
	s_waitcnt lgkmcnt(3)
	v_pk_fma_f16 v46, v38, v54, v46 op_sel_hi:[1,0,1]
	v_pk_fma_f16 v38, v38, v54, v70 op_sel:[0,1,0]
	v_pk_fma_f16 v42, v39, v54, v42 op_sel_hi:[1,0,1]
	v_pk_fma_f16 v39, v39, v54, v71 op_sel:[0,1,0]
	ds_read2_b64 v[70:73], v31 offset0:64 offset1:96
	v_pk_fma_f16 v43, v80, v86, v43 op_sel_hi:[1,0,1]
	v_pk_fma_f16 v44, v81, v86, v44 op_sel_hi:[1,0,1]
	;; [unrolled: 1-line block ×8, first 2 shown]
	v_pk_fma_f16 v53, v101, v89, v53 op_sel:[0,1,0]
	v_pk_fma_f16 v43, v40, v54, v43 op_sel_hi:[1,0,1]
	v_pk_fma_f16 v74, v40, v54, v74 op_sel:[0,1,0]
	v_pk_fma_f16 v44, v41, v54, v44 op_sel_hi:[1,0,1]
	v_pk_fma_f16 v53, v41, v54, v53 op_sel:[0,1,0]
	s_waitcnt lgkmcnt(0)
	v_pk_fma_f16 v46, v70, v55, v46 op_sel_hi:[1,0,1]
	v_pk_fma_f16 v54, v70, v55, v38 op_sel:[0,1,0]
	v_pk_fma_f16 v70, v71, v55, v39 op_sel:[0,1,0]
	ds_read2_b64 v[38:41], v31 offset0:128 offset1:160
	v_pk_fma_f16 v42, v71, v55, v42 op_sel_hi:[1,0,1]
	v_pk_fma_f16 v43, v72, v55, v43 op_sel_hi:[1,0,1]
	v_pk_fma_f16 v74, v72, v55, v74 op_sel:[0,1,0]
	v_pk_fma_f16 v44, v73, v55, v44 op_sel_hi:[1,0,1]
	v_pk_fma_f16 v53, v73, v55, v53 op_sel:[0,1,0]
	s_waitcnt lgkmcnt(0)
	v_pk_fma_f16 v42, v39, v56, v42 op_sel_hi:[1,0,1]
	v_pk_fma_f16 v39, v39, v56, v70 op_sel:[0,1,0]
	ds_read2_b64 v[70:73], v31 offset0:192 offset1:224
	v_pk_fma_f16 v46, v38, v56, v46 op_sel_hi:[1,0,1]
	v_pk_fma_f16 v38, v38, v56, v54 op_sel:[0,1,0]
	v_pk_fma_f16 v43, v40, v56, v43 op_sel_hi:[1,0,1]
	v_pk_fma_f16 v54, v40, v56, v74 op_sel:[0,1,0]
	;; [unrolled: 2-line block ×3, first 2 shown]
	s_waitcnt lgkmcnt(0)
	v_pk_fma_f16 v55, v70, v57, v38 op_sel:[0,1,0]
	v_pk_fma_f16 v56, v71, v57, v39 op_sel:[0,1,0]
	ds_read2_b64 v[38:41], v19 offset1:32
	v_pk_fma_f16 v46, v70, v57, v46 op_sel_hi:[1,0,1]
	v_pk_fma_f16 v42, v71, v57, v42 op_sel_hi:[1,0,1]
	;; [unrolled: 1-line block ×3, first 2 shown]
	v_pk_fma_f16 v70, v72, v57, v54 op_sel:[0,1,0]
	v_pk_fma_f16 v44, v73, v57, v44 op_sel_hi:[1,0,1]
	v_pk_fma_f16 v53, v73, v57, v53 op_sel:[0,1,0]
	s_waitcnt lgkmcnt(0)
	v_pk_fma_f16 v46, v38, v58, v46 op_sel_hi:[1,0,1]
	v_pk_fma_f16 v38, v38, v58, v55 op_sel:[0,1,0]
	v_pk_fma_f16 v42, v39, v58, v42 op_sel_hi:[1,0,1]
	v_pk_fma_f16 v39, v39, v58, v56 op_sel:[0,1,0]
	ds_read2_b64 v[54:57], v19 offset0:64 offset1:96
	v_pk_fma_f16 v43, v40, v58, v43 op_sel_hi:[1,0,1]
	v_pk_fma_f16 v70, v40, v58, v70 op_sel:[0,1,0]
	v_pk_fma_f16 v44, v41, v58, v44 op_sel_hi:[1,0,1]
	v_pk_fma_f16 v53, v41, v58, v53 op_sel:[0,1,0]
	s_waitcnt lgkmcnt(0)
	v_pk_fma_f16 v46, v54, v59, v46 op_sel_hi:[1,0,1]
	v_pk_fma_f16 v54, v54, v59, v38 op_sel:[0,1,0]
	v_pk_fma_f16 v42, v55, v59, v42 op_sel_hi:[1,0,1]
	v_pk_fma_f16 v55, v55, v59, v39 op_sel:[0,1,0]
	ds_read2_b64 v[38:41], v19 offset0:128 offset1:160
	v_pk_fma_f16 v43, v56, v59, v43 op_sel_hi:[1,0,1]
	;; [unrolled: 10-line block ×3, first 2 shown]
	v_pk_fma_f16 v58, v40, v60, v58 op_sel:[0,1,0]
	v_pk_fma_f16 v44, v41, v60, v44 op_sel_hi:[1,0,1]
	v_pk_fma_f16 v53, v41, v60, v53 op_sel:[0,1,0]
	s_waitcnt lgkmcnt(0)
	v_pk_fma_f16 v46, v54, v61, v46 op_sel_hi:[1,0,1]
	v_pk_fma_f16 v54, v54, v61, v38 op_sel:[0,1,0]
	v_pk_fma_f16 v42, v55, v61, v42 op_sel_hi:[1,0,1]
	v_pk_fma_f16 v55, v55, v61, v39 op_sel:[0,1,0]
	ds_read2_b64 v[38:41], v20 offset1:32
	v_pk_fma_f16 v43, v56, v61, v43 op_sel_hi:[1,0,1]
	v_pk_fma_f16 v58, v56, v61, v58 op_sel:[0,1,0]
	v_pk_fma_f16 v44, v57, v61, v44 op_sel_hi:[1,0,1]
	v_pk_fma_f16 v53, v57, v61, v53 op_sel:[0,1,0]
	s_waitcnt lgkmcnt(0)
	v_pk_fma_f16 v46, v38, v62, v46 op_sel_hi:[1,0,1]
	v_pk_fma_f16 v38, v38, v62, v54 op_sel:[0,1,0]
	v_pk_fma_f16 v42, v39, v62, v42 op_sel_hi:[1,0,1]
	v_pk_fma_f16 v39, v39, v62, v55 op_sel:[0,1,0]
	ds_read2_b64 v[54:57], v20 offset0:64 offset1:96
	v_pk_fma_f16 v43, v40, v62, v43 op_sel_hi:[1,0,1]
	v_pk_fma_f16 v58, v40, v62, v58 op_sel:[0,1,0]
	v_pk_fma_f16 v44, v41, v62, v44 op_sel_hi:[1,0,1]
	v_pk_fma_f16 v53, v41, v62, v53 op_sel:[0,1,0]
	s_waitcnt lgkmcnt(0)
	v_pk_fma_f16 v46, v54, v63, v46 op_sel_hi:[1,0,1]
	v_pk_fma_f16 v54, v54, v63, v38 op_sel:[0,1,0]
	v_pk_fma_f16 v42, v55, v63, v42 op_sel_hi:[1,0,1]
	v_pk_fma_f16 v55, v55, v63, v39 op_sel:[0,1,0]
	ds_read2_b64 v[38:41], v20 offset0:128 offset1:160
	;; [unrolled: 10-line block ×3, first 2 shown]
	v_pk_fma_f16 v43, v40, v64, v43 op_sel_hi:[1,0,1]
	v_pk_fma_f16 v58, v40, v64, v58 op_sel:[0,1,0]
	v_pk_fma_f16 v44, v41, v64, v44 op_sel_hi:[1,0,1]
	v_pk_fma_f16 v53, v41, v64, v53 op_sel:[0,1,0]
	s_waitcnt lgkmcnt(0)
	v_pk_fma_f16 v46, v54, v65, v46 op_sel_hi:[1,0,1]
	v_pk_fma_f16 v54, v54, v65, v38 op_sel:[0,1,0]
	v_pk_fma_f16 v42, v55, v65, v42 op_sel_hi:[1,0,1]
	v_pk_fma_f16 v55, v55, v65, v39 op_sel:[0,1,0]
	ds_read2_b64 v[38:41], v21 offset1:32
	v_pk_fma_f16 v43, v56, v65, v43 op_sel_hi:[1,0,1]
	v_pk_fma_f16 v58, v56, v65, v58 op_sel:[0,1,0]
	v_pk_fma_f16 v44, v57, v65, v44 op_sel_hi:[1,0,1]
	v_pk_fma_f16 v53, v57, v65, v53 op_sel:[0,1,0]
	s_waitcnt lgkmcnt(0)
	v_pk_fma_f16 v46, v38, v66, v46 op_sel_hi:[1,0,1]
	v_pk_fma_f16 v38, v38, v66, v54 op_sel:[0,1,0]
	v_pk_fma_f16 v42, v39, v66, v42 op_sel_hi:[1,0,1]
	v_pk_fma_f16 v39, v39, v66, v55 op_sel:[0,1,0]
	ds_read2_b64 v[54:57], v21 offset0:64 offset1:96
	v_pk_fma_f16 v43, v40, v66, v43 op_sel_hi:[1,0,1]
	v_pk_fma_f16 v58, v40, v66, v58 op_sel:[0,1,0]
	v_pk_fma_f16 v44, v41, v66, v44 op_sel_hi:[1,0,1]
	v_pk_fma_f16 v53, v41, v66, v53 op_sel:[0,1,0]
	s_waitcnt lgkmcnt(0)
	v_pk_fma_f16 v46, v54, v67, v46 op_sel_hi:[1,0,1]
	v_pk_fma_f16 v54, v54, v67, v38 op_sel:[0,1,0]
	v_pk_fma_f16 v42, v55, v67, v42 op_sel_hi:[1,0,1]
	v_pk_fma_f16 v55, v55, v67, v39 op_sel:[0,1,0]
	ds_read2_b64 v[38:41], v21 offset0:128 offset1:160
	;; [unrolled: 10-line block ×3, first 2 shown]
	v_pk_fma_f16 v43, v40, v68, v43 op_sel_hi:[1,0,1]
	v_pk_fma_f16 v62, v40, v68, v58 op_sel:[0,1,0]
	v_pk_fma_f16 v44, v41, v68, v44 op_sel_hi:[1,0,1]
	v_pk_fma_f16 v53, v41, v68, v53 op_sel:[0,1,0]
	s_waitcnt lgkmcnt(0)
	v_pk_fma_f16 v63, v54, v69, v38 op_sel:[0,1,0]
	v_pk_fma_f16 v64, v55, v69, v39 op_sel:[0,1,0]
	ds_read2_b64 v[38:41], v18 offset1:32
	ds_read_b128 v[58:61], v28 offset:320
	v_pk_fma_f16 v46, v54, v69, v46 op_sel_hi:[1,0,1]
	v_pk_fma_f16 v42, v55, v69, v42 op_sel_hi:[1,0,1]
	v_pk_fma_f16 v66, v56, v69, v62 op_sel:[0,1,0]
	v_pk_fma_f16 v43, v56, v69, v43 op_sel_hi:[1,0,1]
	s_waitcnt lgkmcnt(0)
	v_pk_fma_f16 v46, v38, v58, v46 op_sel_hi:[1,0,1]
	v_pk_fma_f16 v38, v38, v58, v63 op_sel:[0,1,0]
	v_pk_fma_f16 v42, v39, v58, v42 op_sel_hi:[1,0,1]
	v_pk_fma_f16 v39, v39, v58, v64 op_sel:[0,1,0]
	ds_read2_b64 v[62:65], v18 offset0:64 offset1:96
	v_pk_fma_f16 v44, v57, v69, v44 op_sel_hi:[1,0,1]
	v_pk_fma_f16 v53, v57, v69, v53 op_sel:[0,1,0]
	v_pk_fma_f16 v43, v40, v58, v43 op_sel_hi:[1,0,1]
	v_pk_fma_f16 v66, v40, v58, v66 op_sel:[0,1,0]
	;; [unrolled: 2-line block ×3, first 2 shown]
	s_waitcnt lgkmcnt(0)
	v_pk_fma_f16 v46, v62, v59, v46 op_sel_hi:[1,0,1]
	v_pk_fma_f16 v58, v62, v59, v38 op_sel:[0,1,0]
	v_pk_fma_f16 v62, v63, v59, v39 op_sel:[0,1,0]
	ds_read2_b64 v[38:41], v18 offset0:128 offset1:160
	v_pk_fma_f16 v42, v63, v59, v42 op_sel_hi:[1,0,1]
	v_pk_fma_f16 v43, v64, v59, v43 op_sel_hi:[1,0,1]
	v_pk_fma_f16 v66, v64, v59, v66 op_sel:[0,1,0]
	v_pk_fma_f16 v44, v65, v59, v44 op_sel_hi:[1,0,1]
	v_pk_fma_f16 v53, v65, v59, v53 op_sel:[0,1,0]
	s_waitcnt lgkmcnt(0)
	v_pk_fma_f16 v42, v39, v60, v42 op_sel_hi:[1,0,1]
	v_pk_fma_f16 v39, v39, v60, v62 op_sel:[0,1,0]
	ds_read2_b64 v[62:65], v18 offset0:192 offset1:224
	v_pk_fma_f16 v46, v38, v60, v46 op_sel_hi:[1,0,1]
	v_pk_fma_f16 v38, v38, v60, v58 op_sel:[0,1,0]
	ds_read_b128 v[54:57], v28 offset:336
	v_pk_fma_f16 v43, v40, v60, v43 op_sel_hi:[1,0,1]
	v_pk_fma_f16 v58, v40, v60, v66 op_sel:[0,1,0]
	v_pk_fma_f16 v44, v41, v60, v44 op_sel_hi:[1,0,1]
	v_pk_fma_f16 v53, v41, v60, v53 op_sel:[0,1,0]
	s_waitcnt lgkmcnt(1)
	v_pk_fma_f16 v59, v62, v61, v38 op_sel:[0,1,0]
	v_pk_fma_f16 v60, v63, v61, v39 op_sel:[0,1,0]
	ds_read2_b64 v[38:41], v37 offset1:32
	v_pk_fma_f16 v46, v62, v61, v46 op_sel_hi:[1,0,1]
	v_pk_fma_f16 v42, v63, v61, v42 op_sel_hi:[1,0,1]
	v_pk_fma_f16 v43, v64, v61, v43 op_sel_hi:[1,0,1]
	v_pk_fma_f16 v62, v64, v61, v58 op_sel:[0,1,0]
	v_pk_fma_f16 v44, v65, v61, v44 op_sel_hi:[1,0,1]
	v_pk_fma_f16 v53, v65, v61, v53 op_sel:[0,1,0]
	s_waitcnt lgkmcnt(0)
	v_pk_fma_f16 v46, v38, v54, v46 op_sel_hi:[1,0,1]
	v_pk_fma_f16 v38, v38, v54, v59 op_sel:[0,1,0]
	v_pk_fma_f16 v42, v39, v54, v42 op_sel_hi:[1,0,1]
	v_pk_fma_f16 v39, v39, v54, v60 op_sel:[0,1,0]
	ds_read2_b64 v[58:61], v37 offset0:64 offset1:96
	s_or_b32 s10, s6, 0x60
	s_mul_hi_i32 s11, s10, s14
	s_mul_i32 s10, s10, s14
	s_lshl_b64 s[10:11], s[10:11], 2
	s_add_u32 s10, s12, s10
	v_pk_fma_f16 v43, v40, v54, v43 op_sel_hi:[1,0,1]
	s_addc_u32 s11, s13, s11
	s_waitcnt lgkmcnt(0)
	v_pk_fma_f16 v109, v59, v55, v42 op_sel_hi:[1,0,1]
	v_pk_fma_f16 v111, v60, v55, v43 op_sel_hi:[1,0,1]
	v_mov_b32_e32 v42, s11
	v_add_co_u32_e32 v43, vcc, s10, v12
	v_addc_co_u32_e32 v42, vcc, v42, v13, vcc
	v_pk_fma_f16 v62, v40, v54, v62 op_sel:[0,1,0]
	v_pk_fma_f16 v44, v41, v54, v44 op_sel_hi:[1,0,1]
	v_pk_fma_f16 v53, v41, v54, v53 op_sel:[0,1,0]
	v_add_co_u32_e32 v54, vcc, v43, v45
	v_pk_fma_f16 v46, v58, v55, v46 op_sel_hi:[1,0,1]
	v_pk_fma_f16 v108, v58, v55, v38 op_sel:[0,1,0]
	v_pk_fma_f16 v110, v59, v55, v39 op_sel:[0,1,0]
	;; [unrolled: 1-line block ×3, first 2 shown]
	v_pk_fma_f16 v113, v61, v55, v44 op_sel_hi:[1,0,1]
	v_pk_fma_f16 v53, v61, v55, v53 op_sel:[0,1,0]
	v_addc_co_u32_e32 v55, vcc, 0, v42, vcc
	v_mov_b32_e32 v42, s11
	v_add_co_u32_e32 v43, vcc, s10, v14
	v_addc_co_u32_e32 v42, vcc, v42, v15, vcc
	v_add_co_u32_e32 v106, vcc, v43, v45
	ds_read2_b64 v[38:41], v37 offset0:128 offset1:160
	ds_read2_b64 v[58:61], v37 offset0:192 offset1:224
	ds_read2_b64 v[62:65], v17 offset1:32
	ds_read2_b64 v[66:69], v17 offset0:64 offset1:96
	ds_read2_b64 v[70:73], v17 offset0:128 offset1:160
	ds_read2_b64 v[74:77], v17 offset0:192 offset1:224
	ds_read2_b64 v[78:81], v16 offset1:32
	ds_read_b128 v[82:85], v28 offset:352
	ds_read_b128 v[86:89], v28 offset:368
	ds_read2_b64 v[90:93], v16 offset0:64 offset1:96
	ds_read2_b64 v[94:97], v16 offset0:128 offset1:160
	;; [unrolled: 1-line block ×3, first 2 shown]
	s_waitcnt lgkmcnt(0)
	s_barrier
	v_addc_co_u32_e32 v107, vcc, 0, v42, vcc
	global_load_dwordx4 v[42:45], v[54:55], off
	global_load_dwordx4 v[102:105], v[106:107], off
	v_pk_fma_f16 v46, v38, v56, v46 op_sel_hi:[1,0,1]
	v_pk_fma_f16 v38, v38, v56, v108 op_sel:[0,1,0]
	v_pk_fma_f16 v54, v39, v56, v109 op_sel_hi:[1,0,1]
	v_pk_fma_f16 v39, v39, v56, v110 op_sel:[0,1,0]
	;; [unrolled: 2-line block ×4, first 2 shown]
	v_pk_fma_f16 v38, v58, v57, v38 op_sel:[0,1,0]
	v_pk_fma_f16 v39, v59, v57, v39 op_sel:[0,1,0]
	;; [unrolled: 1-line block ×15, first 2 shown]
	v_pk_fma_f16 v46, v58, v57, v46 op_sel_hi:[1,0,1]
	v_pk_fma_f16 v53, v59, v57, v54 op_sel_hi:[1,0,1]
	v_pk_fma_f16 v41, v73, v84, v41 op_sel:[0,1,0]
	v_pk_fma_f16 v38, v74, v85, v38 op_sel:[0,1,0]
	v_pk_fma_f16 v39, v75, v85, v39 op_sel:[0,1,0]
	v_pk_fma_f16 v40, v76, v85, v40 op_sel:[0,1,0]
	v_pk_fma_f16 v54, v60, v57, v55 op_sel_hi:[1,0,1]
	v_pk_fma_f16 v55, v61, v57, v106 op_sel_hi:[1,0,1]
	v_pk_fma_f16 v46, v62, v82, v46 op_sel_hi:[1,0,1]
	v_pk_fma_f16 v53, v63, v82, v53 op_sel_hi:[1,0,1]
	v_pk_fma_f16 v41, v77, v85, v41 op_sel:[0,1,0]
	v_pk_fma_f16 v38, v78, v86, v38 op_sel:[0,1,0]
	v_pk_fma_f16 v39, v79, v86, v39 op_sel:[0,1,0]
	v_pk_fma_f16 v40, v80, v86, v40 op_sel:[0,1,0]
	v_pk_fma_f16 v54, v64, v82, v54 op_sel_hi:[1,0,1]
	v_pk_fma_f16 v55, v65, v82, v55 op_sel_hi:[1,0,1]
	;; [unrolled: 8-line block ×4, first 2 shown]
	v_pk_fma_f16 v46, v74, v85, v46 op_sel_hi:[1,0,1]
	v_pk_fma_f16 v53, v75, v85, v53 op_sel_hi:[1,0,1]
	v_pk_fma_f16 v56, v97, v88, v41 op_sel:[0,1,0]
	v_pk_fma_f16 v66, v98, v89, v38 op_sel:[0,1,0]
	;; [unrolled: 1-line block ×4, first 2 shown]
	s_waitcnt vmcnt(1)
	ds_write_b128 v29, v[42:45]
	s_waitcnt vmcnt(0)
	ds_write_b128 v30, v[102:105]
	s_waitcnt lgkmcnt(0)
	s_barrier
	ds_read2_b64 v[38:41], v31 offset1:32
	ds_read_b128 v[42:45], v28 offset:384
	v_pk_fma_f16 v54, v76, v85, v54 op_sel_hi:[1,0,1]
	v_pk_fma_f16 v55, v77, v85, v55 op_sel_hi:[1,0,1]
	;; [unrolled: 1-line block ×18, first 2 shown]
	v_pk_fma_f16 v73, v101, v89, v56 op_sel:[0,1,0]
	ds_read_b128 v[54:57], v28 offset:400
	ds_read_b128 v[58:61], v28 offset:416
	ds_read_b128 v[62:65], v28 offset:432
	s_waitcnt lgkmcnt(3)
	v_pk_fma_f16 v46, v38, v42, v46 op_sel_hi:[1,0,1]
	v_pk_fma_f16 v38, v38, v42, v66 op_sel:[0,1,0]
	v_pk_fma_f16 v53, v39, v42, v53 op_sel_hi:[1,0,1]
	v_pk_fma_f16 v39, v39, v42, v67 op_sel:[0,1,0]
	ds_read2_b64 v[66:69], v31 offset0:64 offset1:96
	v_pk_fma_f16 v70, v40, v42, v70 op_sel_hi:[1,0,1]
	v_pk_fma_f16 v71, v40, v42, v71 op_sel:[0,1,0]
	v_pk_fma_f16 v72, v41, v42, v72 op_sel_hi:[1,0,1]
	v_pk_fma_f16 v42, v41, v42, v73 op_sel:[0,1,0]
	s_waitcnt lgkmcnt(0)
	v_pk_fma_f16 v46, v66, v43, v46 op_sel_hi:[1,0,1]
	v_pk_fma_f16 v66, v66, v43, v38 op_sel:[0,1,0]
	v_pk_fma_f16 v53, v67, v43, v53 op_sel_hi:[1,0,1]
	v_pk_fma_f16 v67, v67, v43, v39 op_sel:[0,1,0]
	ds_read2_b64 v[38:41], v31 offset0:128 offset1:160
	v_pk_fma_f16 v70, v68, v43, v70 op_sel_hi:[1,0,1]
	v_pk_fma_f16 v71, v68, v43, v71 op_sel:[0,1,0]
	v_pk_fma_f16 v72, v69, v43, v72 op_sel_hi:[1,0,1]
	v_pk_fma_f16 v42, v69, v43, v42 op_sel:[0,1,0]
	;; [unrolled: 10-line block ×3, first 2 shown]
	s_waitcnt lgkmcnt(0)
	v_pk_fma_f16 v43, v66, v45, v43 op_sel_hi:[1,0,1]
	v_pk_fma_f16 v44, v66, v45, v38 op_sel:[0,1,0]
	v_pk_fma_f16 v66, v67, v45, v39 op_sel:[0,1,0]
	ds_read2_b64 v[38:41], v19 offset1:32
	v_pk_fma_f16 v46, v67, v45, v46 op_sel_hi:[1,0,1]
	v_pk_fma_f16 v53, v68, v45, v53 op_sel_hi:[1,0,1]
	v_pk_fma_f16 v67, v68, v45, v70 op_sel:[0,1,0]
	v_pk_fma_f16 v68, v69, v45, v71 op_sel_hi:[1,0,1]
	v_pk_fma_f16 v69, v69, v45, v42 op_sel:[0,1,0]
	s_waitcnt lgkmcnt(0)
	v_pk_fma_f16 v70, v38, v54, v43 op_sel_hi:[1,0,1]
	v_pk_fma_f16 v38, v38, v54, v44 op_sel:[0,1,0]
	ds_read2_b64 v[42:45], v19 offset0:64 offset1:96
	v_pk_fma_f16 v46, v39, v54, v46 op_sel_hi:[1,0,1]
	v_pk_fma_f16 v39, v39, v54, v66 op_sel:[0,1,0]
	v_pk_fma_f16 v53, v40, v54, v53 op_sel_hi:[1,0,1]
	v_pk_fma_f16 v66, v40, v54, v67 op_sel:[0,1,0]
	;; [unrolled: 2-line block ×3, first 2 shown]
	s_waitcnt lgkmcnt(0)
	v_pk_fma_f16 v68, v42, v55, v70 op_sel_hi:[1,0,1]
	v_pk_fma_f16 v42, v42, v55, v38 op_sel:[0,1,0]
	v_pk_fma_f16 v46, v43, v55, v46 op_sel_hi:[1,0,1]
	v_pk_fma_f16 v43, v43, v55, v39 op_sel:[0,1,0]
	ds_read2_b64 v[38:41], v19 offset0:128 offset1:160
	v_pk_fma_f16 v53, v44, v55, v53 op_sel_hi:[1,0,1]
	v_pk_fma_f16 v66, v44, v55, v66 op_sel:[0,1,0]
	v_pk_fma_f16 v67, v45, v55, v67 op_sel_hi:[1,0,1]
	v_pk_fma_f16 v54, v45, v55, v54 op_sel:[0,1,0]
	s_waitcnt lgkmcnt(0)
	v_pk_fma_f16 v55, v38, v56, v68 op_sel_hi:[1,0,1]
	v_pk_fma_f16 v38, v38, v56, v42 op_sel:[0,1,0]
	v_pk_fma_f16 v46, v39, v56, v46 op_sel_hi:[1,0,1]
	v_pk_fma_f16 v39, v39, v56, v43 op_sel:[0,1,0]
	ds_read2_b64 v[42:45], v19 offset0:192 offset1:224
	v_pk_fma_f16 v19, v40, v56, v53 op_sel_hi:[1,0,1]
	v_pk_fma_f16 v53, v40, v56, v66 op_sel:[0,1,0]
	v_pk_fma_f16 v66, v41, v56, v67 op_sel_hi:[1,0,1]
	v_pk_fma_f16 v54, v41, v56, v54 op_sel:[0,1,0]
	s_waitcnt lgkmcnt(0)
	v_pk_fma_f16 v55, v42, v57, v55 op_sel_hi:[1,0,1]
	v_pk_fma_f16 v42, v42, v57, v38 op_sel:[0,1,0]
	v_pk_fma_f16 v46, v43, v57, v46 op_sel_hi:[1,0,1]
	v_pk_fma_f16 v43, v43, v57, v39 op_sel:[0,1,0]
	ds_read2_b64 v[38:41], v20 offset1:32
	v_pk_fma_f16 v19, v44, v57, v19 op_sel_hi:[1,0,1]
	v_pk_fma_f16 v53, v44, v57, v53 op_sel:[0,1,0]
	v_pk_fma_f16 v56, v45, v57, v66 op_sel_hi:[1,0,1]
	v_pk_fma_f16 v54, v45, v57, v54 op_sel:[0,1,0]
	s_waitcnt lgkmcnt(0)
	v_pk_fma_f16 v55, v38, v58, v55 op_sel_hi:[1,0,1]
	v_pk_fma_f16 v38, v38, v58, v42 op_sel:[0,1,0]
	v_pk_fma_f16 v46, v39, v58, v46 op_sel_hi:[1,0,1]
	v_pk_fma_f16 v39, v39, v58, v43 op_sel:[0,1,0]
	ds_read2_b64 v[42:45], v20 offset0:64 offset1:96
	v_pk_fma_f16 v19, v40, v58, v19 op_sel_hi:[1,0,1]
	v_pk_fma_f16 v53, v40, v58, v53 op_sel:[0,1,0]
	v_pk_fma_f16 v56, v41, v58, v56 op_sel_hi:[1,0,1]
	v_pk_fma_f16 v54, v41, v58, v54 op_sel:[0,1,0]
	s_waitcnt lgkmcnt(0)
	v_pk_fma_f16 v55, v42, v59, v55 op_sel_hi:[1,0,1]
	v_pk_fma_f16 v42, v42, v59, v38 op_sel:[0,1,0]
	v_pk_fma_f16 v46, v43, v59, v46 op_sel_hi:[1,0,1]
	v_pk_fma_f16 v43, v43, v59, v39 op_sel:[0,1,0]
	ds_read2_b64 v[38:41], v20 offset0:128 offset1:160
	;; [unrolled: 10-line block ×3, first 2 shown]
	v_pk_fma_f16 v19, v40, v60, v19 op_sel_hi:[1,0,1]
	v_pk_fma_f16 v20, v40, v60, v53 op_sel:[0,1,0]
	v_pk_fma_f16 v53, v41, v60, v56 op_sel_hi:[1,0,1]
	v_pk_fma_f16 v54, v41, v60, v54 op_sel:[0,1,0]
	s_waitcnt lgkmcnt(0)
	v_pk_fma_f16 v55, v42, v61, v55 op_sel_hi:[1,0,1]
	v_pk_fma_f16 v42, v42, v61, v38 op_sel:[0,1,0]
	v_pk_fma_f16 v46, v43, v61, v46 op_sel_hi:[1,0,1]
	v_pk_fma_f16 v43, v43, v61, v39 op_sel:[0,1,0]
	ds_read2_b64 v[38:41], v21 offset1:32
	v_pk_fma_f16 v19, v44, v61, v19 op_sel_hi:[1,0,1]
	v_pk_fma_f16 v20, v44, v61, v20 op_sel:[0,1,0]
	v_pk_fma_f16 v53, v45, v61, v53 op_sel_hi:[1,0,1]
	v_pk_fma_f16 v54, v45, v61, v54 op_sel:[0,1,0]
	s_waitcnt lgkmcnt(0)
	v_pk_fma_f16 v55, v38, v62, v55 op_sel_hi:[1,0,1]
	v_pk_fma_f16 v38, v38, v62, v42 op_sel:[0,1,0]
	v_pk_fma_f16 v46, v39, v62, v46 op_sel_hi:[1,0,1]
	v_pk_fma_f16 v39, v39, v62, v43 op_sel:[0,1,0]
	ds_read2_b64 v[42:45], v21 offset0:64 offset1:96
	v_pk_fma_f16 v19, v40, v62, v19 op_sel_hi:[1,0,1]
	v_pk_fma_f16 v20, v40, v62, v20 op_sel:[0,1,0]
	v_pk_fma_f16 v53, v41, v62, v53 op_sel_hi:[1,0,1]
	v_pk_fma_f16 v54, v41, v62, v54 op_sel:[0,1,0]
	s_waitcnt lgkmcnt(0)
	v_pk_fma_f16 v55, v42, v63, v55 op_sel_hi:[1,0,1]
	v_pk_fma_f16 v42, v42, v63, v38 op_sel:[0,1,0]
	v_pk_fma_f16 v46, v43, v63, v46 op_sel_hi:[1,0,1]
	v_pk_fma_f16 v43, v43, v63, v39 op_sel:[0,1,0]
	ds_read2_b64 v[38:41], v21 offset0:128 offset1:160
	;; [unrolled: 10-line block ×3, first 2 shown]
	v_pk_fma_f16 v19, v40, v64, v19 op_sel_hi:[1,0,1]
	v_pk_fma_f16 v20, v40, v64, v20 op_sel:[0,1,0]
	v_pk_fma_f16 v21, v41, v64, v53 op_sel_hi:[1,0,1]
	v_pk_fma_f16 v53, v41, v64, v54 op_sel:[0,1,0]
	s_waitcnt lgkmcnt(0)
	v_pk_fma_f16 v58, v42, v65, v55 op_sel_hi:[1,0,1]
	v_pk_fma_f16 v59, v42, v65, v38 op_sel:[0,1,0]
	v_pk_fma_f16 v60, v43, v65, v39 op_sel:[0,1,0]
	ds_read2_b64 v[38:41], v18 offset1:32
	ds_read_b128 v[54:57], v28 offset:448
	v_pk_fma_f16 v46, v43, v65, v46 op_sel_hi:[1,0,1]
	v_pk_fma_f16 v19, v44, v65, v19 op_sel_hi:[1,0,1]
	v_pk_fma_f16 v20, v44, v65, v20 op_sel:[0,1,0]
	v_pk_fma_f16 v21, v45, v65, v21 op_sel_hi:[1,0,1]
	s_waitcnt lgkmcnt(0)
	v_pk_fma_f16 v62, v38, v54, v58 op_sel_hi:[1,0,1]
	v_pk_fma_f16 v38, v38, v54, v59 op_sel:[0,1,0]
	v_pk_fma_f16 v46, v39, v54, v46 op_sel_hi:[1,0,1]
	v_pk_fma_f16 v39, v39, v54, v60 op_sel:[0,1,0]
	ds_read2_b64 v[58:61], v18 offset0:64 offset1:96
	v_pk_fma_f16 v53, v45, v65, v53 op_sel:[0,1,0]
	v_pk_fma_f16 v19, v40, v54, v19 op_sel_hi:[1,0,1]
	v_pk_fma_f16 v20, v40, v54, v20 op_sel:[0,1,0]
	v_pk_fma_f16 v21, v41, v54, v21 op_sel_hi:[1,0,1]
	v_pk_fma_f16 v53, v41, v54, v53 op_sel:[0,1,0]
	s_waitcnt lgkmcnt(0)
	v_pk_fma_f16 v54, v58, v55, v62 op_sel_hi:[1,0,1]
	v_pk_fma_f16 v58, v58, v55, v38 op_sel:[0,1,0]
	v_pk_fma_f16 v46, v59, v55, v46 op_sel_hi:[1,0,1]
	v_pk_fma_f16 v59, v59, v55, v39 op_sel:[0,1,0]
	ds_read2_b64 v[38:41], v18 offset0:128 offset1:160
	v_pk_fma_f16 v62, v60, v55, v19 op_sel_hi:[1,0,1]
	v_pk_fma_f16 v60, v60, v55, v20 op_sel:[0,1,0]
	v_pk_fma_f16 v63, v61, v55, v21 op_sel_hi:[1,0,1]
	ds_read2_b64 v[18:21], v18 offset0:192 offset1:224
	v_pk_fma_f16 v53, v61, v55, v53 op_sel:[0,1,0]
	s_waitcnt lgkmcnt(1)
	v_pk_fma_f16 v54, v38, v56, v54 op_sel_hi:[1,0,1]
	v_pk_fma_f16 v38, v38, v56, v58 op_sel:[0,1,0]
	v_pk_fma_f16 v46, v39, v56, v46 op_sel_hi:[1,0,1]
	v_pk_fma_f16 v39, v39, v56, v59 op_sel:[0,1,0]
	ds_read_b128 v[42:45], v28 offset:464
	v_pk_fma_f16 v55, v40, v56, v62 op_sel_hi:[1,0,1]
	v_pk_fma_f16 v58, v40, v56, v60 op_sel:[0,1,0]
	v_pk_fma_f16 v59, v41, v56, v63 op_sel_hi:[1,0,1]
	v_pk_fma_f16 v53, v41, v56, v53 op_sel:[0,1,0]
	s_waitcnt lgkmcnt(1)
	v_pk_fma_f16 v54, v18, v57, v54 op_sel_hi:[1,0,1]
	v_pk_fma_f16 v18, v18, v57, v38 op_sel:[0,1,0]
	v_pk_fma_f16 v46, v19, v57, v46 op_sel_hi:[1,0,1]
	v_pk_fma_f16 v19, v19, v57, v39 op_sel:[0,1,0]
	ds_read2_b64 v[38:41], v37 offset1:32
	v_pk_fma_f16 v55, v20, v57, v55 op_sel_hi:[1,0,1]
	v_pk_fma_f16 v56, v20, v57, v58 op_sel:[0,1,0]
	v_pk_fma_f16 v58, v21, v57, v59 op_sel_hi:[1,0,1]
	v_pk_fma_f16 v53, v21, v57, v53 op_sel:[0,1,0]
	s_waitcnt lgkmcnt(0)
	v_pk_fma_f16 v54, v38, v42, v54 op_sel_hi:[1,0,1]
	v_pk_fma_f16 v38, v38, v42, v18 op_sel:[0,1,0]
	v_pk_fma_f16 v46, v39, v42, v46 op_sel_hi:[1,0,1]
	v_pk_fma_f16 v39, v39, v42, v19 op_sel:[0,1,0]
	ds_read2_b64 v[18:21], v37 offset0:64 offset1:96
	v_pk_fma_f16 v55, v40, v42, v55 op_sel_hi:[1,0,1]
	v_pk_fma_f16 v56, v40, v42, v56 op_sel:[0,1,0]
	v_pk_fma_f16 v57, v41, v42, v58 op_sel_hi:[1,0,1]
	v_pk_fma_f16 v42, v41, v42, v53 op_sel:[0,1,0]
	s_waitcnt lgkmcnt(0)
	v_pk_fma_f16 v53, v18, v43, v54 op_sel_hi:[1,0,1]
	v_pk_fma_f16 v18, v18, v43, v38 op_sel:[0,1,0]
	v_pk_fma_f16 v46, v19, v43, v46 op_sel_hi:[1,0,1]
	v_pk_fma_f16 v19, v19, v43, v39 op_sel:[0,1,0]
	ds_read2_b64 v[38:41], v37 offset0:128 offset1:160
	v_pk_fma_f16 v54, v20, v43, v55 op_sel_hi:[1,0,1]
	v_pk_fma_f16 v55, v20, v43, v56 op_sel:[0,1,0]
	v_pk_fma_f16 v56, v21, v43, v57 op_sel_hi:[1,0,1]
	v_pk_fma_f16 v42, v21, v43, v42 op_sel:[0,1,0]
	s_waitcnt lgkmcnt(0)
	v_pk_fma_f16 v43, v38, v44, v53 op_sel_hi:[1,0,1]
	v_pk_fma_f16 v38, v38, v44, v18 op_sel:[0,1,0]
	v_pk_fma_f16 v46, v39, v44, v46 op_sel_hi:[1,0,1]
	v_pk_fma_f16 v39, v39, v44, v19 op_sel:[0,1,0]
	ds_read2_b64 v[18:21], v37 offset0:192 offset1:224
	v_pk_fma_f16 v37, v40, v44, v54 op_sel_hi:[1,0,1]
	v_pk_fma_f16 v53, v40, v44, v55 op_sel:[0,1,0]
	v_pk_fma_f16 v58, v41, v44, v56 op_sel_hi:[1,0,1]
	v_pk_fma_f16 v42, v41, v44, v42 op_sel:[0,1,0]
	s_waitcnt lgkmcnt(0)
	v_pk_fma_f16 v44, v18, v45, v38 op_sel:[0,1,0]
	v_pk_fma_f16 v59, v19, v45, v39 op_sel:[0,1,0]
	ds_read2_b64 v[38:41], v17 offset1:32
	ds_read_b128 v[54:57], v28 offset:480
	v_pk_fma_f16 v43, v18, v45, v43 op_sel_hi:[1,0,1]
	v_pk_fma_f16 v46, v19, v45, v46 op_sel_hi:[1,0,1]
	;; [unrolled: 1-line block ×3, first 2 shown]
	v_pk_fma_f16 v53, v20, v45, v53 op_sel:[0,1,0]
	v_pk_fma_f16 v58, v21, v45, v58 op_sel_hi:[1,0,1]
	v_pk_fma_f16 v60, v21, v45, v42 op_sel:[0,1,0]
	s_waitcnt lgkmcnt(0)
	v_pk_fma_f16 v61, v38, v54, v43 op_sel_hi:[1,0,1]
	v_pk_fma_f16 v38, v38, v54, v44 op_sel:[0,1,0]
	ds_read2_b64 v[42:45], v17 offset0:64 offset1:96
	v_pk_fma_f16 v46, v39, v54, v46 op_sel_hi:[1,0,1]
	v_pk_fma_f16 v39, v39, v54, v59 op_sel:[0,1,0]
	v_pk_fma_f16 v37, v40, v54, v37 op_sel_hi:[1,0,1]
	v_pk_fma_f16 v53, v40, v54, v53 op_sel:[0,1,0]
	v_pk_fma_f16 v58, v41, v54, v58 op_sel_hi:[1,0,1]
	v_pk_fma_f16 v54, v41, v54, v60 op_sel:[0,1,0]
	s_waitcnt lgkmcnt(0)
	v_pk_fma_f16 v59, v42, v55, v61 op_sel_hi:[1,0,1]
	v_pk_fma_f16 v42, v42, v55, v38 op_sel:[0,1,0]
	v_pk_fma_f16 v46, v43, v55, v46 op_sel_hi:[1,0,1]
	v_pk_fma_f16 v43, v43, v55, v39 op_sel:[0,1,0]
	ds_read2_b64 v[38:41], v17 offset0:128 offset1:160
	v_pk_fma_f16 v37, v44, v55, v37 op_sel_hi:[1,0,1]
	v_pk_fma_f16 v53, v44, v55, v53 op_sel:[0,1,0]
	v_pk_fma_f16 v58, v45, v55, v58 op_sel_hi:[1,0,1]
	v_pk_fma_f16 v54, v45, v55, v54 op_sel:[0,1,0]
	s_waitcnt lgkmcnt(0)
	v_pk_fma_f16 v55, v38, v56, v59 op_sel_hi:[1,0,1]
	v_pk_fma_f16 v38, v38, v56, v42 op_sel:[0,1,0]
	v_pk_fma_f16 v46, v39, v56, v46 op_sel_hi:[1,0,1]
	v_pk_fma_f16 v39, v39, v56, v43 op_sel:[0,1,0]
	ds_read2_b64 v[42:45], v17 offset0:192 offset1:224
	ds_read_b128 v[18:21], v28 offset:496
	v_pk_fma_f16 v17, v40, v56, v37 op_sel_hi:[1,0,1]
	v_pk_fma_f16 v37, v40, v56, v53 op_sel:[0,1,0]
	v_pk_fma_f16 v53, v41, v56, v58 op_sel_hi:[1,0,1]
	v_pk_fma_f16 v54, v41, v56, v54 op_sel:[0,1,0]
	s_waitcnt lgkmcnt(1)
	v_pk_fma_f16 v55, v42, v57, v55 op_sel_hi:[1,0,1]
	v_pk_fma_f16 v42, v42, v57, v38 op_sel:[0,1,0]
	v_pk_fma_f16 v46, v43, v57, v46 op_sel_hi:[1,0,1]
	v_pk_fma_f16 v43, v43, v57, v39 op_sel:[0,1,0]
	ds_read2_b64 v[38:41], v16 offset1:32
	v_pk_fma_f16 v17, v44, v57, v17 op_sel_hi:[1,0,1]
	v_pk_fma_f16 v37, v44, v57, v37 op_sel:[0,1,0]
	v_pk_fma_f16 v53, v45, v57, v53 op_sel_hi:[1,0,1]
	v_pk_fma_f16 v54, v45, v57, v54 op_sel:[0,1,0]
	s_waitcnt lgkmcnt(0)
	v_pk_fma_f16 v55, v38, v18, v55 op_sel_hi:[1,0,1]
	v_pk_fma_f16 v38, v38, v18, v42 op_sel:[0,1,0]
	v_pk_fma_f16 v46, v39, v18, v46 op_sel_hi:[1,0,1]
	v_pk_fma_f16 v39, v39, v18, v43 op_sel:[0,1,0]
	ds_read2_b64 v[42:45], v16 offset0:64 offset1:96
	v_pk_fma_f16 v17, v40, v18, v17 op_sel_hi:[1,0,1]
	v_pk_fma_f16 v37, v40, v18, v37 op_sel:[0,1,0]
	v_pk_fma_f16 v53, v41, v18, v53 op_sel_hi:[1,0,1]
	v_pk_fma_f16 v18, v41, v18, v54 op_sel:[0,1,0]
	s_waitcnt lgkmcnt(0)
	v_pk_fma_f16 v54, v42, v19, v55 op_sel_hi:[1,0,1]
	v_pk_fma_f16 v42, v42, v19, v38 op_sel:[0,1,0]
	v_pk_fma_f16 v46, v43, v19, v46 op_sel_hi:[1,0,1]
	v_pk_fma_f16 v43, v43, v19, v39 op_sel:[0,1,0]
	ds_read2_b64 v[38:41], v16 offset0:128 offset1:160
	v_pk_fma_f16 v55, v44, v19, v17 op_sel_hi:[1,0,1]
	v_pk_fma_f16 v37, v44, v19, v37 op_sel:[0,1,0]
	v_pk_fma_f16 v44, v45, v19, v53 op_sel_hi:[1,0,1]
	v_pk_fma_f16 v45, v45, v19, v18 op_sel:[0,1,0]
	ds_read2_b64 v[16:19], v16 offset0:192 offset1:224
	s_waitcnt lgkmcnt(0)
	s_barrier
	s_load_dword s10, s[8:9], 0x4
	v_pk_fma_f16 v53, v38, v20, v54 op_sel_hi:[1,0,1]
	v_pk_fma_f16 v38, v38, v20, v42 op_sel:[0,1,0]
	v_pk_fma_f16 v46, v39, v20, v46 op_sel_hi:[1,0,1]
	v_pk_fma_f16 v39, v39, v20, v43 op_sel:[0,1,0]
	s_waitcnt lgkmcnt(0)
	s_lshl_b32 s10, s10, 7
	v_pk_fma_f16 v43, v40, v20, v55 op_sel_hi:[1,0,1]
	v_pk_fma_f16 v37, v40, v20, v37 op_sel:[0,1,0]
	v_pk_fma_f16 v54, v41, v20, v44 op_sel_hi:[1,0,1]
	v_pk_fma_f16 v20, v41, v20, v45 op_sel:[0,1,0]
	s_add_i32 s6, s10, s6
	v_pk_fma_f16 v42, v16, v21, v53 op_sel_hi:[1,0,1]
	v_pk_fma_f16 v38, v16, v21, v38 op_sel:[0,1,0]
	v_pk_fma_f16 v41, v17, v21, v46 op_sel_hi:[1,0,1]
	v_pk_fma_f16 v40, v17, v21, v39 op_sel:[0,1,0]
	;; [unrolled: 2-line block ×3, first 2 shown]
	v_pk_fma_f16 v43, v19, v21, v54 op_sel_hi:[1,0,1]
	s_cmp_ge_i32 s6, s28
	v_pk_fma_f16 v37, v19, v21, v20 op_sel:[0,1,0]
	s_cbranch_scc1 .LBB5_46
.LBB5_14:                               ; =>This Inner Loop Header: Depth=1
	s_mul_hi_i32 s11, s6, s15
	s_mul_i32 s10, s6, s15
	s_lshl_b64 s[10:11], s[10:11], 2
	s_add_u32 s10, s18, s10
	s_addc_u32 s11, s19, s11
	v_mov_b32_e32 v16, s11
	v_add_co_u32_e32 v17, vcc, s10, v8
	v_addc_co_u32_e32 v18, vcc, v16, v9, vcc
	v_add_co_u32_e32 v16, vcc, v17, v32
	v_addc_co_u32_e32 v17, vcc, 0, v18, vcc
	v_mov_b32_e32 v18, s11
	v_add_co_u32_e32 v19, vcc, s10, v10
	v_addc_co_u32_e32 v20, vcc, v18, v11, vcc
	v_add_co_u32_e32 v18, vcc, v19, v32
	v_addc_co_u32_e32 v19, vcc, 0, v20, vcc
	global_load_dwordx4 v[52:55], v[16:17], off
	global_load_dwordx4 v[56:59], v[18:19], off
	v_mov_b32_e32 v47, 0
	v_mov_b32_e32 v20, 0
	;; [unrolled: 1-line block ×8, first 2 shown]
	s_waitcnt vmcnt(1)
	ds_write_b128 v24, v[52:55]
	s_waitcnt vmcnt(0)
	ds_write_b128 v25, v[56:59]
	s_waitcnt lgkmcnt(0)
	s_barrier
	ds_read_b128 v[52:55], v26 offset:20480
	ds_read_b128 v[56:59], v27
	ds_read_b128 v[60:63], v26 offset:25088
	ds_read_b128 v[64:67], v26 offset:29696
	;; [unrolled: 1-line block ×4, first 2 shown]
	s_waitcnt lgkmcnt(4)
	;;#ASMSTART
	v_dot2_f32_f16 v47, v52, v56, v47
	;;#ASMEND
	;;#ASMSTART
	v_dot2_f32_f16 v47, v53, v57, v47
	;;#ASMEND
	;; [unrolled: 3-line block ×4, first 2 shown]
	s_waitcnt lgkmcnt(0)
	;;#ASMSTART
	v_dot2_f32_f16 v20, v52, v72, v20
	;;#ASMEND
	;;#ASMSTART
	v_dot2_f32_f16 v20, v53, v73, v20
	;;#ASMEND
	;; [unrolled: 3-line block ×28, first 2 shown]
	ds_read_b128 v[52:55], v26 offset:20496
	ds_read_b128 v[56:59], v27 offset:16
	;; [unrolled: 1-line block ×6, first 2 shown]
	s_waitcnt lgkmcnt(4)
	;;#ASMSTART
	v_dot2_f32_f16 v47, v52, v56, v47
	;;#ASMEND
	;;#ASMSTART
	v_dot2_f32_f16 v47, v53, v57, v47
	;;#ASMEND
	;;#ASMSTART
	v_dot2_f32_f16 v47, v54, v58, v47
	;;#ASMEND
	;;#ASMSTART
	v_dot2_f32_f16 v47, v55, v59, v47
	;;#ASMEND
	s_waitcnt lgkmcnt(0)
	;;#ASMSTART
	v_dot2_f32_f16 v20, v52, v72, v20
	;;#ASMEND
	;;#ASMSTART
	v_dot2_f32_f16 v20, v53, v73, v20
	;;#ASMEND
	;; [unrolled: 3-line block ×28, first 2 shown]
	ds_read_b128 v[52:55], v26 offset:20512
	ds_read_b128 v[56:59], v27 offset:32
	ds_read_b128 v[60:63], v26 offset:25120
	ds_read_b128 v[64:67], v26 offset:29728
	ds_read_b128 v[68:71], v26 offset:34336
	ds_read_b128 v[72:75], v27 offset:672
	s_waitcnt lgkmcnt(4)
	;;#ASMSTART
	v_dot2_f32_f16 v47, v52, v56, v47
	;;#ASMEND
	;;#ASMSTART
	v_dot2_f32_f16 v47, v53, v57, v47
	;;#ASMEND
	;; [unrolled: 3-line block ×4, first 2 shown]
	s_waitcnt lgkmcnt(0)
	;;#ASMSTART
	v_dot2_f32_f16 v20, v52, v72, v20
	;;#ASMEND
	;;#ASMSTART
	v_dot2_f32_f16 v20, v53, v73, v20
	;;#ASMEND
	;; [unrolled: 3-line block ×28, first 2 shown]
	ds_read_b128 v[52:55], v26 offset:20528
	ds_read_b128 v[56:59], v27 offset:48
	ds_read_b128 v[60:63], v26 offset:25136
	ds_read_b128 v[64:67], v26 offset:29744
	ds_read_b128 v[68:71], v26 offset:34352
	ds_read_b128 v[72:75], v27 offset:688
	s_waitcnt lgkmcnt(4)
	;;#ASMSTART
	v_dot2_f32_f16 v47, v52, v56, v47
	;;#ASMEND
	;;#ASMSTART
	v_dot2_f32_f16 v47, v53, v57, v47
	;;#ASMEND
	;;#ASMSTART
	v_dot2_f32_f16 v47, v54, v58, v47
	;;#ASMEND
	;;#ASMSTART
	v_dot2_f32_f16 v47, v55, v59, v47
	;;#ASMEND
	s_waitcnt lgkmcnt(0)
	;;#ASMSTART
	v_dot2_f32_f16 v20, v52, v72, v20
	;;#ASMEND
	;;#ASMSTART
	v_dot2_f32_f16 v20, v53, v73, v20
	;;#ASMEND
	;; [unrolled: 3-line block ×28, first 2 shown]
	ds_read_b128 v[52:55], v26 offset:20544
	ds_read_b128 v[56:59], v27 offset:64
	;; [unrolled: 1-line block ×6, first 2 shown]
	s_waitcnt lgkmcnt(4)
	;;#ASMSTART
	v_dot2_f32_f16 v47, v52, v56, v47
	;;#ASMEND
	;;#ASMSTART
	v_dot2_f32_f16 v47, v53, v57, v47
	;;#ASMEND
	;; [unrolled: 3-line block ×4, first 2 shown]
	s_waitcnt lgkmcnt(0)
	;;#ASMSTART
	v_dot2_f32_f16 v20, v52, v72, v20
	;;#ASMEND
	;;#ASMSTART
	v_dot2_f32_f16 v20, v53, v73, v20
	;;#ASMEND
	;;#ASMSTART
	v_dot2_f32_f16 v20, v54, v74, v20
	;;#ASMEND
	;;#ASMSTART
	v_dot2_f32_f16 v20, v55, v75, v20
	;;#ASMEND
	;;#ASMSTART
	v_dot2_f32_f16 v48, v60, v56, v48
	;;#ASMEND
	;;#ASMSTART
	v_dot2_f32_f16 v48, v61, v57, v48
	;;#ASMEND
	;;#ASMSTART
	v_dot2_f32_f16 v48, v62, v58, v48
	;;#ASMEND
	;;#ASMSTART
	v_dot2_f32_f16 v48, v63, v59, v48
	;;#ASMEND
	;;#ASMSTART
	v_dot2_f32_f16 v21, v60, v72, v21
	;;#ASMEND
	;;#ASMSTART
	v_dot2_f32_f16 v21, v61, v73, v21
	;;#ASMEND
	;;#ASMSTART
	v_dot2_f32_f16 v21, v62, v74, v21
	;;#ASMEND
	;;#ASMSTART
	v_dot2_f32_f16 v21, v63, v75, v21
	;;#ASMEND
	;;#ASMSTART
	v_dot2_f32_f16 v49, v64, v56, v49
	;;#ASMEND
	;;#ASMSTART
	v_dot2_f32_f16 v49, v65, v57, v49
	;;#ASMEND
	;;#ASMSTART
	v_dot2_f32_f16 v49, v66, v58, v49
	;;#ASMEND
	;;#ASMSTART
	v_dot2_f32_f16 v49, v67, v59, v49
	;;#ASMEND
	;;#ASMSTART
	v_dot2_f32_f16 v45, v64, v72, v45
	;;#ASMEND
	;;#ASMSTART
	v_dot2_f32_f16 v45, v65, v73, v45
	;;#ASMEND
	;;#ASMSTART
	v_dot2_f32_f16 v45, v66, v74, v45
	;;#ASMEND
	;;#ASMSTART
	v_dot2_f32_f16 v45, v67, v75, v45
	;;#ASMEND
	;;#ASMSTART
	v_dot2_f32_f16 v50, v68, v56, v50
	;;#ASMEND
	;;#ASMSTART
	v_dot2_f32_f16 v50, v69, v57, v50
	;;#ASMEND
	;;#ASMSTART
	v_dot2_f32_f16 v50, v70, v58, v50
	;;#ASMEND
	;;#ASMSTART
	v_dot2_f32_f16 v50, v71, v59, v50
	;;#ASMEND
	;;#ASMSTART
	v_dot2_f32_f16 v46, v68, v72, v46
	;;#ASMEND
	;;#ASMSTART
	v_dot2_f32_f16 v46, v69, v73, v46
	;;#ASMEND
	;;#ASMSTART
	v_dot2_f32_f16 v46, v70, v74, v46
	;;#ASMEND
	;;#ASMSTART
	v_dot2_f32_f16 v46, v71, v75, v46
	;;#ASMEND
	ds_read_b128 v[52:55], v26 offset:20560
	ds_read_b128 v[56:59], v27 offset:80
	;; [unrolled: 1-line block ×6, first 2 shown]
	s_waitcnt lgkmcnt(4)
	;;#ASMSTART
	v_dot2_f32_f16 v47, v52, v56, v47
	;;#ASMEND
	;;#ASMSTART
	v_dot2_f32_f16 v47, v53, v57, v47
	;;#ASMEND
	;; [unrolled: 3-line block ×4, first 2 shown]
	s_waitcnt lgkmcnt(0)
	;;#ASMSTART
	v_dot2_f32_f16 v20, v52, v72, v20
	;;#ASMEND
	;;#ASMSTART
	v_dot2_f32_f16 v20, v53, v73, v20
	;;#ASMEND
	;; [unrolled: 3-line block ×28, first 2 shown]
	ds_read_b128 v[52:55], v26 offset:20576
	ds_read_b128 v[56:59], v27 offset:96
	;; [unrolled: 1-line block ×6, first 2 shown]
	s_waitcnt lgkmcnt(4)
	;;#ASMSTART
	v_dot2_f32_f16 v47, v52, v56, v47
	;;#ASMEND
	;;#ASMSTART
	v_dot2_f32_f16 v47, v53, v57, v47
	;;#ASMEND
	;; [unrolled: 3-line block ×4, first 2 shown]
	s_waitcnt lgkmcnt(0)
	;;#ASMSTART
	v_dot2_f32_f16 v20, v52, v72, v20
	;;#ASMEND
	;;#ASMSTART
	v_dot2_f32_f16 v20, v53, v73, v20
	;;#ASMEND
	;;#ASMSTART
	v_dot2_f32_f16 v20, v54, v74, v20
	;;#ASMEND
	;;#ASMSTART
	v_dot2_f32_f16 v20, v55, v75, v20
	;;#ASMEND
	;;#ASMSTART
	v_dot2_f32_f16 v48, v60, v56, v48
	;;#ASMEND
	;;#ASMSTART
	v_dot2_f32_f16 v48, v61, v57, v48
	;;#ASMEND
	;;#ASMSTART
	v_dot2_f32_f16 v48, v62, v58, v48
	;;#ASMEND
	;;#ASMSTART
	v_dot2_f32_f16 v48, v63, v59, v48
	;;#ASMEND
	;;#ASMSTART
	v_dot2_f32_f16 v21, v60, v72, v21
	;;#ASMEND
	;;#ASMSTART
	v_dot2_f32_f16 v21, v61, v73, v21
	;;#ASMEND
	;;#ASMSTART
	v_dot2_f32_f16 v21, v62, v74, v21
	;;#ASMEND
	;;#ASMSTART
	v_dot2_f32_f16 v21, v63, v75, v21
	;;#ASMEND
	;;#ASMSTART
	v_dot2_f32_f16 v49, v64, v56, v49
	;;#ASMEND
	;;#ASMSTART
	v_dot2_f32_f16 v49, v65, v57, v49
	;;#ASMEND
	;;#ASMSTART
	v_dot2_f32_f16 v49, v66, v58, v49
	;;#ASMEND
	;;#ASMSTART
	v_dot2_f32_f16 v49, v67, v59, v49
	;;#ASMEND
	;;#ASMSTART
	v_dot2_f32_f16 v45, v64, v72, v45
	;;#ASMEND
	;;#ASMSTART
	v_dot2_f32_f16 v45, v65, v73, v45
	;;#ASMEND
	;;#ASMSTART
	v_dot2_f32_f16 v45, v66, v74, v45
	;;#ASMEND
	;;#ASMSTART
	v_dot2_f32_f16 v45, v67, v75, v45
	;;#ASMEND
	;;#ASMSTART
	v_dot2_f32_f16 v50, v68, v56, v50
	;;#ASMEND
	;;#ASMSTART
	v_dot2_f32_f16 v50, v69, v57, v50
	;;#ASMEND
	;;#ASMSTART
	v_dot2_f32_f16 v50, v70, v58, v50
	;;#ASMEND
	;;#ASMSTART
	v_dot2_f32_f16 v50, v71, v59, v50
	;;#ASMEND
	;;#ASMSTART
	v_dot2_f32_f16 v46, v68, v72, v46
	;;#ASMEND
	;;#ASMSTART
	v_dot2_f32_f16 v46, v69, v73, v46
	;;#ASMEND
	;;#ASMSTART
	v_dot2_f32_f16 v46, v70, v74, v46
	;;#ASMEND
	;;#ASMSTART
	v_dot2_f32_f16 v46, v71, v75, v46
	;;#ASMEND
	ds_read_b128 v[52:55], v26 offset:20592
	ds_read_b128 v[56:59], v27 offset:112
	;; [unrolled: 1-line block ×6, first 2 shown]
	s_waitcnt lgkmcnt(4)
	;;#ASMSTART
	v_dot2_f32_f16 v47, v52, v56, v47
	;;#ASMEND
	;;#ASMSTART
	v_dot2_f32_f16 v47, v53, v57, v47
	;;#ASMEND
	;; [unrolled: 3-line block ×4, first 2 shown]
	s_waitcnt lgkmcnt(0)
	;;#ASMSTART
	v_dot2_f32_f16 v20, v52, v72, v20
	;;#ASMEND
	;;#ASMSTART
	v_dot2_f32_f16 v20, v53, v73, v20
	;;#ASMEND
	;; [unrolled: 3-line block ×28, first 2 shown]
	s_barrier
	global_load_dwordx4 v[52:55], v[16:17], off offset:128
	global_load_dwordx4 v[56:59], v[18:19], off offset:128
	s_waitcnt vmcnt(1)
	ds_write_b128 v24, v[52:55]
	s_waitcnt vmcnt(0)
	ds_write_b128 v25, v[56:59]
	s_waitcnt lgkmcnt(0)
	s_barrier
	ds_read_b128 v[52:55], v26 offset:20480
	ds_read_b128 v[56:59], v27 offset:128
	;; [unrolled: 1-line block ×6, first 2 shown]
	s_waitcnt lgkmcnt(4)
	;;#ASMSTART
	v_dot2_f32_f16 v47, v52, v56, v47
	;;#ASMEND
	;;#ASMSTART
	v_dot2_f32_f16 v47, v53, v57, v47
	;;#ASMEND
	;; [unrolled: 3-line block ×4, first 2 shown]
	s_waitcnt lgkmcnt(0)
	;;#ASMSTART
	v_dot2_f32_f16 v20, v52, v72, v20
	;;#ASMEND
	;;#ASMSTART
	v_dot2_f32_f16 v20, v53, v73, v20
	;;#ASMEND
	;;#ASMSTART
	v_dot2_f32_f16 v20, v54, v74, v20
	;;#ASMEND
	;;#ASMSTART
	v_dot2_f32_f16 v20, v55, v75, v20
	;;#ASMEND
	;;#ASMSTART
	v_dot2_f32_f16 v48, v60, v56, v48
	;;#ASMEND
	;;#ASMSTART
	v_dot2_f32_f16 v48, v61, v57, v48
	;;#ASMEND
	;;#ASMSTART
	v_dot2_f32_f16 v48, v62, v58, v48
	;;#ASMEND
	;;#ASMSTART
	v_dot2_f32_f16 v48, v63, v59, v48
	;;#ASMEND
	;;#ASMSTART
	v_dot2_f32_f16 v21, v60, v72, v21
	;;#ASMEND
	;;#ASMSTART
	v_dot2_f32_f16 v21, v61, v73, v21
	;;#ASMEND
	;;#ASMSTART
	v_dot2_f32_f16 v21, v62, v74, v21
	;;#ASMEND
	;;#ASMSTART
	v_dot2_f32_f16 v21, v63, v75, v21
	;;#ASMEND
	;;#ASMSTART
	v_dot2_f32_f16 v49, v64, v56, v49
	;;#ASMEND
	;;#ASMSTART
	v_dot2_f32_f16 v49, v65, v57, v49
	;;#ASMEND
	;;#ASMSTART
	v_dot2_f32_f16 v49, v66, v58, v49
	;;#ASMEND
	;;#ASMSTART
	v_dot2_f32_f16 v49, v67, v59, v49
	;;#ASMEND
	;;#ASMSTART
	v_dot2_f32_f16 v45, v64, v72, v45
	;;#ASMEND
	;;#ASMSTART
	v_dot2_f32_f16 v45, v65, v73, v45
	;;#ASMEND
	;;#ASMSTART
	v_dot2_f32_f16 v45, v66, v74, v45
	;;#ASMEND
	;;#ASMSTART
	v_dot2_f32_f16 v45, v67, v75, v45
	;;#ASMEND
	;;#ASMSTART
	v_dot2_f32_f16 v50, v68, v56, v50
	;;#ASMEND
	;;#ASMSTART
	v_dot2_f32_f16 v50, v69, v57, v50
	;;#ASMEND
	;;#ASMSTART
	v_dot2_f32_f16 v50, v70, v58, v50
	;;#ASMEND
	;;#ASMSTART
	v_dot2_f32_f16 v50, v71, v59, v50
	;;#ASMEND
	;;#ASMSTART
	v_dot2_f32_f16 v46, v68, v72, v46
	;;#ASMEND
	;;#ASMSTART
	v_dot2_f32_f16 v46, v69, v73, v46
	;;#ASMEND
	;;#ASMSTART
	v_dot2_f32_f16 v46, v70, v74, v46
	;;#ASMEND
	;;#ASMSTART
	v_dot2_f32_f16 v46, v71, v75, v46
	;;#ASMEND
	ds_read_b128 v[52:55], v26 offset:20496
	ds_read_b128 v[56:59], v27 offset:144
	;; [unrolled: 1-line block ×6, first 2 shown]
	s_waitcnt lgkmcnt(4)
	;;#ASMSTART
	v_dot2_f32_f16 v47, v52, v56, v47
	;;#ASMEND
	;;#ASMSTART
	v_dot2_f32_f16 v47, v53, v57, v47
	;;#ASMEND
	;; [unrolled: 3-line block ×4, first 2 shown]
	s_waitcnt lgkmcnt(0)
	;;#ASMSTART
	v_dot2_f32_f16 v20, v52, v72, v20
	;;#ASMEND
	;;#ASMSTART
	v_dot2_f32_f16 v20, v53, v73, v20
	;;#ASMEND
	;; [unrolled: 3-line block ×28, first 2 shown]
	ds_read_b128 v[52:55], v26 offset:20512
	ds_read_b128 v[56:59], v27 offset:160
	;; [unrolled: 1-line block ×6, first 2 shown]
	s_waitcnt lgkmcnt(4)
	;;#ASMSTART
	v_dot2_f32_f16 v47, v52, v56, v47
	;;#ASMEND
	;;#ASMSTART
	v_dot2_f32_f16 v47, v53, v57, v47
	;;#ASMEND
	;; [unrolled: 3-line block ×4, first 2 shown]
	s_waitcnt lgkmcnt(0)
	;;#ASMSTART
	v_dot2_f32_f16 v20, v52, v72, v20
	;;#ASMEND
	;;#ASMSTART
	v_dot2_f32_f16 v20, v53, v73, v20
	;;#ASMEND
	;; [unrolled: 3-line block ×28, first 2 shown]
	ds_read_b128 v[52:55], v26 offset:20528
	ds_read_b128 v[56:59], v27 offset:176
	;; [unrolled: 1-line block ×6, first 2 shown]
	s_waitcnt lgkmcnt(4)
	;;#ASMSTART
	v_dot2_f32_f16 v47, v52, v56, v47
	;;#ASMEND
	;;#ASMSTART
	v_dot2_f32_f16 v47, v53, v57, v47
	;;#ASMEND
	;; [unrolled: 3-line block ×4, first 2 shown]
	s_waitcnt lgkmcnt(0)
	;;#ASMSTART
	v_dot2_f32_f16 v20, v52, v72, v20
	;;#ASMEND
	;;#ASMSTART
	v_dot2_f32_f16 v20, v53, v73, v20
	;;#ASMEND
	;; [unrolled: 3-line block ×28, first 2 shown]
	ds_read_b128 v[52:55], v26 offset:20544
	ds_read_b128 v[56:59], v27 offset:192
	;; [unrolled: 1-line block ×6, first 2 shown]
	s_waitcnt lgkmcnt(4)
	;;#ASMSTART
	v_dot2_f32_f16 v47, v52, v56, v47
	;;#ASMEND
	;;#ASMSTART
	v_dot2_f32_f16 v47, v53, v57, v47
	;;#ASMEND
	;; [unrolled: 3-line block ×4, first 2 shown]
	s_waitcnt lgkmcnt(0)
	;;#ASMSTART
	v_dot2_f32_f16 v20, v52, v72, v20
	;;#ASMEND
	;;#ASMSTART
	v_dot2_f32_f16 v20, v53, v73, v20
	;;#ASMEND
	;; [unrolled: 3-line block ×28, first 2 shown]
	ds_read_b128 v[52:55], v26 offset:20560
	ds_read_b128 v[56:59], v27 offset:208
	;; [unrolled: 1-line block ×6, first 2 shown]
	s_waitcnt lgkmcnt(4)
	;;#ASMSTART
	v_dot2_f32_f16 v47, v52, v56, v47
	;;#ASMEND
	;;#ASMSTART
	v_dot2_f32_f16 v47, v53, v57, v47
	;;#ASMEND
	;; [unrolled: 3-line block ×4, first 2 shown]
	s_waitcnt lgkmcnt(0)
	;;#ASMSTART
	v_dot2_f32_f16 v20, v52, v72, v20
	;;#ASMEND
	;;#ASMSTART
	v_dot2_f32_f16 v20, v53, v73, v20
	;;#ASMEND
	;; [unrolled: 3-line block ×28, first 2 shown]
	ds_read_b128 v[52:55], v26 offset:20576
	ds_read_b128 v[56:59], v27 offset:224
	;; [unrolled: 1-line block ×6, first 2 shown]
	s_waitcnt lgkmcnt(4)
	;;#ASMSTART
	v_dot2_f32_f16 v47, v52, v56, v47
	;;#ASMEND
	;;#ASMSTART
	v_dot2_f32_f16 v47, v53, v57, v47
	;;#ASMEND
	;; [unrolled: 3-line block ×4, first 2 shown]
	s_waitcnt lgkmcnt(0)
	;;#ASMSTART
	v_dot2_f32_f16 v20, v52, v72, v20
	;;#ASMEND
	;;#ASMSTART
	v_dot2_f32_f16 v20, v53, v73, v20
	;;#ASMEND
	;; [unrolled: 3-line block ×28, first 2 shown]
	ds_read_b128 v[52:55], v26 offset:20592
	ds_read_b128 v[56:59], v27 offset:240
	;; [unrolled: 1-line block ×6, first 2 shown]
	s_waitcnt lgkmcnt(4)
	;;#ASMSTART
	v_dot2_f32_f16 v47, v52, v56, v47
	;;#ASMEND
	;;#ASMSTART
	v_dot2_f32_f16 v47, v53, v57, v47
	;;#ASMEND
	;; [unrolled: 3-line block ×4, first 2 shown]
	s_waitcnt lgkmcnt(0)
	;;#ASMSTART
	v_dot2_f32_f16 v20, v52, v72, v20
	;;#ASMEND
	;;#ASMSTART
	v_dot2_f32_f16 v20, v53, v73, v20
	;;#ASMEND
	;; [unrolled: 3-line block ×28, first 2 shown]
	s_barrier
	global_load_dwordx4 v[52:55], v[16:17], off offset:256
	global_load_dwordx4 v[56:59], v[18:19], off offset:256
	s_waitcnt vmcnt(1)
	ds_write_b128 v24, v[52:55]
	s_waitcnt vmcnt(0)
	ds_write_b128 v25, v[56:59]
	s_waitcnt lgkmcnt(0)
	s_barrier
	ds_read_b128 v[52:55], v26 offset:20480
	ds_read_b128 v[56:59], v27 offset:256
	ds_read_b128 v[60:63], v26 offset:25088
	ds_read_b128 v[64:67], v26 offset:29696
	ds_read_b128 v[68:71], v26 offset:34304
	ds_read_b128 v[72:75], v27 offset:896
	s_waitcnt lgkmcnt(4)
	;;#ASMSTART
	v_dot2_f32_f16 v47, v52, v56, v47
	;;#ASMEND
	;;#ASMSTART
	v_dot2_f32_f16 v47, v53, v57, v47
	;;#ASMEND
	;; [unrolled: 3-line block ×4, first 2 shown]
	s_waitcnt lgkmcnt(0)
	;;#ASMSTART
	v_dot2_f32_f16 v20, v52, v72, v20
	;;#ASMEND
	;;#ASMSTART
	v_dot2_f32_f16 v20, v53, v73, v20
	;;#ASMEND
	;; [unrolled: 3-line block ×28, first 2 shown]
	ds_read_b128 v[52:55], v26 offset:20496
	ds_read_b128 v[56:59], v27 offset:272
	;; [unrolled: 1-line block ×6, first 2 shown]
	s_waitcnt lgkmcnt(4)
	;;#ASMSTART
	v_dot2_f32_f16 v47, v52, v56, v47
	;;#ASMEND
	;;#ASMSTART
	v_dot2_f32_f16 v47, v53, v57, v47
	;;#ASMEND
	;; [unrolled: 3-line block ×4, first 2 shown]
	s_waitcnt lgkmcnt(0)
	;;#ASMSTART
	v_dot2_f32_f16 v20, v52, v72, v20
	;;#ASMEND
	;;#ASMSTART
	v_dot2_f32_f16 v20, v53, v73, v20
	;;#ASMEND
	;; [unrolled: 3-line block ×28, first 2 shown]
	ds_read_b128 v[52:55], v26 offset:20512
	ds_read_b128 v[56:59], v27 offset:288
	;; [unrolled: 1-line block ×6, first 2 shown]
	s_waitcnt lgkmcnt(4)
	;;#ASMSTART
	v_dot2_f32_f16 v47, v52, v56, v47
	;;#ASMEND
	;;#ASMSTART
	v_dot2_f32_f16 v47, v53, v57, v47
	;;#ASMEND
	;; [unrolled: 3-line block ×4, first 2 shown]
	s_waitcnt lgkmcnt(0)
	;;#ASMSTART
	v_dot2_f32_f16 v20, v52, v72, v20
	;;#ASMEND
	;;#ASMSTART
	v_dot2_f32_f16 v20, v53, v73, v20
	;;#ASMEND
	;; [unrolled: 3-line block ×28, first 2 shown]
	ds_read_b128 v[52:55], v26 offset:20528
	ds_read_b128 v[56:59], v27 offset:304
	;; [unrolled: 1-line block ×6, first 2 shown]
	s_waitcnt lgkmcnt(4)
	;;#ASMSTART
	v_dot2_f32_f16 v47, v52, v56, v47
	;;#ASMEND
	;;#ASMSTART
	v_dot2_f32_f16 v47, v53, v57, v47
	;;#ASMEND
	;; [unrolled: 3-line block ×4, first 2 shown]
	s_waitcnt lgkmcnt(0)
	;;#ASMSTART
	v_dot2_f32_f16 v20, v52, v72, v20
	;;#ASMEND
	;;#ASMSTART
	v_dot2_f32_f16 v20, v53, v73, v20
	;;#ASMEND
	;; [unrolled: 3-line block ×28, first 2 shown]
	ds_read_b128 v[52:55], v26 offset:20544
	ds_read_b128 v[56:59], v27 offset:320
	;; [unrolled: 1-line block ×6, first 2 shown]
	s_waitcnt lgkmcnt(4)
	;;#ASMSTART
	v_dot2_f32_f16 v47, v52, v56, v47
	;;#ASMEND
	;;#ASMSTART
	v_dot2_f32_f16 v47, v53, v57, v47
	;;#ASMEND
	;; [unrolled: 3-line block ×4, first 2 shown]
	s_waitcnt lgkmcnt(0)
	;;#ASMSTART
	v_dot2_f32_f16 v20, v52, v72, v20
	;;#ASMEND
	;;#ASMSTART
	v_dot2_f32_f16 v20, v53, v73, v20
	;;#ASMEND
	;; [unrolled: 3-line block ×28, first 2 shown]
	ds_read_b128 v[52:55], v26 offset:20560
	ds_read_b128 v[56:59], v27 offset:336
	;; [unrolled: 1-line block ×6, first 2 shown]
	s_waitcnt lgkmcnt(4)
	;;#ASMSTART
	v_dot2_f32_f16 v47, v52, v56, v47
	;;#ASMEND
	;;#ASMSTART
	v_dot2_f32_f16 v47, v53, v57, v47
	;;#ASMEND
	;; [unrolled: 3-line block ×4, first 2 shown]
	s_waitcnt lgkmcnt(0)
	;;#ASMSTART
	v_dot2_f32_f16 v20, v52, v72, v20
	;;#ASMEND
	;;#ASMSTART
	v_dot2_f32_f16 v20, v53, v73, v20
	;;#ASMEND
	;; [unrolled: 3-line block ×28, first 2 shown]
	ds_read_b128 v[52:55], v26 offset:20576
	ds_read_b128 v[56:59], v27 offset:352
	;; [unrolled: 1-line block ×6, first 2 shown]
	s_waitcnt lgkmcnt(4)
	;;#ASMSTART
	v_dot2_f32_f16 v47, v52, v56, v47
	;;#ASMEND
	;;#ASMSTART
	v_dot2_f32_f16 v47, v53, v57, v47
	;;#ASMEND
	;; [unrolled: 3-line block ×4, first 2 shown]
	s_waitcnt lgkmcnt(0)
	;;#ASMSTART
	v_dot2_f32_f16 v20, v52, v72, v20
	;;#ASMEND
	;;#ASMSTART
	v_dot2_f32_f16 v20, v53, v73, v20
	;;#ASMEND
	;; [unrolled: 3-line block ×28, first 2 shown]
	ds_read_b128 v[52:55], v26 offset:20592
	ds_read_b128 v[56:59], v27 offset:368
	;; [unrolled: 1-line block ×6, first 2 shown]
	s_waitcnt lgkmcnt(4)
	;;#ASMSTART
	v_dot2_f32_f16 v47, v52, v56, v47
	;;#ASMEND
	;;#ASMSTART
	v_dot2_f32_f16 v47, v53, v57, v47
	;;#ASMEND
	;; [unrolled: 3-line block ×4, first 2 shown]
	s_waitcnt lgkmcnt(0)
	;;#ASMSTART
	v_dot2_f32_f16 v20, v52, v72, v20
	;;#ASMEND
	;;#ASMSTART
	v_dot2_f32_f16 v20, v53, v73, v20
	;;#ASMEND
	;; [unrolled: 3-line block ×28, first 2 shown]
	s_barrier
	global_load_dwordx4 v[52:55], v[16:17], off offset:384
	global_load_dwordx4 v[56:59], v[18:19], off offset:384
	s_waitcnt vmcnt(1)
	ds_write_b128 v24, v[52:55]
	s_waitcnt vmcnt(0)
	ds_write_b128 v25, v[56:59]
	s_waitcnt lgkmcnt(0)
	s_barrier
	ds_read_b128 v[52:55], v26 offset:20480
	ds_read_b128 v[56:59], v27 offset:384
	;; [unrolled: 1-line block ×6, first 2 shown]
	s_waitcnt lgkmcnt(4)
	;;#ASMSTART
	v_dot2_f32_f16 v47, v52, v56, v47
	;;#ASMEND
	;;#ASMSTART
	v_dot2_f32_f16 v47, v53, v57, v47
	;;#ASMEND
	;;#ASMSTART
	v_dot2_f32_f16 v47, v54, v58, v47
	;;#ASMEND
	;;#ASMSTART
	v_dot2_f32_f16 v47, v55, v59, v47
	;;#ASMEND
	s_waitcnt lgkmcnt(0)
	;;#ASMSTART
	v_dot2_f32_f16 v20, v52, v72, v20
	;;#ASMEND
	;;#ASMSTART
	v_dot2_f32_f16 v20, v53, v73, v20
	;;#ASMEND
	;; [unrolled: 3-line block ×28, first 2 shown]
	ds_read_b128 v[52:55], v26 offset:20496
	ds_read_b128 v[56:59], v27 offset:400
	;; [unrolled: 1-line block ×6, first 2 shown]
	s_waitcnt lgkmcnt(4)
	;;#ASMSTART
	v_dot2_f32_f16 v47, v52, v56, v47
	;;#ASMEND
	;;#ASMSTART
	v_dot2_f32_f16 v47, v53, v57, v47
	;;#ASMEND
	;; [unrolled: 3-line block ×4, first 2 shown]
	s_waitcnt lgkmcnt(0)
	;;#ASMSTART
	v_dot2_f32_f16 v20, v52, v72, v20
	;;#ASMEND
	;;#ASMSTART
	v_dot2_f32_f16 v20, v53, v73, v20
	;;#ASMEND
	;; [unrolled: 3-line block ×28, first 2 shown]
	ds_read_b128 v[52:55], v26 offset:20512
	ds_read_b128 v[56:59], v27 offset:416
	;; [unrolled: 1-line block ×6, first 2 shown]
	s_waitcnt lgkmcnt(4)
	;;#ASMSTART
	v_dot2_f32_f16 v47, v52, v56, v47
	;;#ASMEND
	;;#ASMSTART
	v_dot2_f32_f16 v47, v53, v57, v47
	;;#ASMEND
	;; [unrolled: 3-line block ×4, first 2 shown]
	s_waitcnt lgkmcnt(0)
	;;#ASMSTART
	v_dot2_f32_f16 v20, v52, v72, v20
	;;#ASMEND
	;;#ASMSTART
	v_dot2_f32_f16 v20, v53, v73, v20
	;;#ASMEND
	;; [unrolled: 3-line block ×28, first 2 shown]
	ds_read_b128 v[52:55], v26 offset:20528
	ds_read_b128 v[56:59], v27 offset:432
	;; [unrolled: 1-line block ×6, first 2 shown]
	s_waitcnt lgkmcnt(4)
	;;#ASMSTART
	v_dot2_f32_f16 v47, v52, v56, v47
	;;#ASMEND
	;;#ASMSTART
	v_dot2_f32_f16 v47, v53, v57, v47
	;;#ASMEND
	;; [unrolled: 3-line block ×4, first 2 shown]
	s_waitcnt lgkmcnt(0)
	;;#ASMSTART
	v_dot2_f32_f16 v20, v52, v72, v20
	;;#ASMEND
	;;#ASMSTART
	v_dot2_f32_f16 v20, v53, v73, v20
	;;#ASMEND
	;; [unrolled: 3-line block ×28, first 2 shown]
	ds_read_b128 v[52:55], v26 offset:20544
	ds_read_b128 v[56:59], v27 offset:448
	ds_read_b128 v[60:63], v26 offset:25152
	ds_read_b128 v[64:67], v26 offset:29760
	ds_read_b128 v[68:71], v26 offset:34368
	ds_read_b128 v[72:75], v27 offset:1088
	s_waitcnt lgkmcnt(4)
	;;#ASMSTART
	v_dot2_f32_f16 v47, v52, v56, v47
	;;#ASMEND
	;;#ASMSTART
	v_dot2_f32_f16 v47, v53, v57, v47
	;;#ASMEND
	;; [unrolled: 3-line block ×4, first 2 shown]
	s_waitcnt lgkmcnt(0)
	;;#ASMSTART
	v_dot2_f32_f16 v20, v52, v72, v20
	;;#ASMEND
	;;#ASMSTART
	v_dot2_f32_f16 v20, v53, v73, v20
	;;#ASMEND
	;; [unrolled: 3-line block ×28, first 2 shown]
	ds_read_b128 v[52:55], v26 offset:20560
	ds_read_b128 v[56:59], v27 offset:464
	;; [unrolled: 1-line block ×6, first 2 shown]
	s_waitcnt lgkmcnt(4)
	;;#ASMSTART
	v_dot2_f32_f16 v47, v52, v56, v47
	;;#ASMEND
	;;#ASMSTART
	v_dot2_f32_f16 v47, v53, v57, v47
	;;#ASMEND
	;; [unrolled: 3-line block ×4, first 2 shown]
	s_waitcnt lgkmcnt(0)
	;;#ASMSTART
	v_dot2_f32_f16 v20, v52, v72, v20
	;;#ASMEND
	;;#ASMSTART
	v_dot2_f32_f16 v20, v53, v73, v20
	;;#ASMEND
	;; [unrolled: 3-line block ×28, first 2 shown]
	ds_read_b128 v[52:55], v26 offset:20576
	ds_read_b128 v[56:59], v27 offset:480
	;; [unrolled: 1-line block ×6, first 2 shown]
	s_waitcnt lgkmcnt(4)
	;;#ASMSTART
	v_dot2_f32_f16 v47, v52, v56, v47
	;;#ASMEND
	;;#ASMSTART
	v_dot2_f32_f16 v47, v53, v57, v47
	;;#ASMEND
	;; [unrolled: 3-line block ×4, first 2 shown]
	s_waitcnt lgkmcnt(0)
	;;#ASMSTART
	v_dot2_f32_f16 v20, v52, v72, v20
	;;#ASMEND
	;;#ASMSTART
	v_dot2_f32_f16 v20, v53, v73, v20
	;;#ASMEND
	;; [unrolled: 3-line block ×28, first 2 shown]
	ds_read_b128 v[52:55], v26 offset:20592
	ds_read_b128 v[56:59], v27 offset:496
	;; [unrolled: 1-line block ×6, first 2 shown]
	s_waitcnt lgkmcnt(4)
	;;#ASMSTART
	v_dot2_f32_f16 v47, v52, v56, v47
	;;#ASMEND
	;;#ASMSTART
	v_dot2_f32_f16 v47, v53, v57, v47
	;;#ASMEND
	;; [unrolled: 3-line block ×4, first 2 shown]
	s_waitcnt lgkmcnt(0)
	;;#ASMSTART
	v_dot2_f32_f16 v20, v52, v72, v20
	;;#ASMEND
	;;#ASMSTART
	v_dot2_f32_f16 v20, v53, v73, v20
	;;#ASMEND
	;; [unrolled: 3-line block ×28, first 2 shown]
	s_barrier
	global_load_dwordx4 v[52:55], v[16:17], off offset:512
	global_load_dwordx4 v[56:59], v[18:19], off offset:512
	s_waitcnt vmcnt(1)
	ds_write_b128 v24, v[52:55]
	s_waitcnt vmcnt(0)
	ds_write_b128 v25, v[56:59]
	s_waitcnt lgkmcnt(0)
	s_barrier
	ds_read_b128 v[16:19], v26 offset:20480
	ds_read_b128 v[52:55], v27 offset:512
	;; [unrolled: 1-line block ×6, first 2 shown]
	s_waitcnt lgkmcnt(4)
	;;#ASMSTART
	v_dot2_f32_f16 v47, v16, v52, v47
	;;#ASMEND
	;;#ASMSTART
	v_dot2_f32_f16 v47, v17, v53, v47
	;;#ASMEND
	;; [unrolled: 3-line block ×4, first 2 shown]
	s_waitcnt lgkmcnt(0)
	;;#ASMSTART
	v_dot2_f32_f16 v20, v16, v68, v20
	;;#ASMEND
	;;#ASMSTART
	v_dot2_f32_f16 v20, v17, v69, v20
	;;#ASMEND
	;;#ASMSTART
	v_dot2_f32_f16 v20, v18, v70, v20
	;;#ASMEND
	;;#ASMSTART
	v_dot2_f32_f16 v20, v19, v71, v20
	;;#ASMEND
	;;#ASMSTART
	v_dot2_f32_f16 v48, v56, v52, v48
	;;#ASMEND
	;;#ASMSTART
	v_dot2_f32_f16 v48, v57, v53, v48
	;;#ASMEND
	;;#ASMSTART
	v_dot2_f32_f16 v48, v58, v54, v48
	;;#ASMEND
	;;#ASMSTART
	v_dot2_f32_f16 v48, v59, v55, v48
	;;#ASMEND
	;;#ASMSTART
	v_dot2_f32_f16 v21, v56, v68, v21
	;;#ASMEND
	;;#ASMSTART
	v_dot2_f32_f16 v21, v57, v69, v21
	;;#ASMEND
	;;#ASMSTART
	v_dot2_f32_f16 v21, v58, v70, v21
	;;#ASMEND
	;;#ASMSTART
	v_dot2_f32_f16 v21, v59, v71, v21
	;;#ASMEND
	;;#ASMSTART
	v_dot2_f32_f16 v49, v60, v52, v49
	;;#ASMEND
	;;#ASMSTART
	v_dot2_f32_f16 v49, v61, v53, v49
	;;#ASMEND
	;;#ASMSTART
	v_dot2_f32_f16 v49, v62, v54, v49
	;;#ASMEND
	;;#ASMSTART
	v_dot2_f32_f16 v49, v63, v55, v49
	;;#ASMEND
	;;#ASMSTART
	v_dot2_f32_f16 v45, v60, v68, v45
	;;#ASMEND
	;;#ASMSTART
	v_dot2_f32_f16 v45, v61, v69, v45
	;;#ASMEND
	;;#ASMSTART
	v_dot2_f32_f16 v45, v62, v70, v45
	;;#ASMEND
	;;#ASMSTART
	v_dot2_f32_f16 v45, v63, v71, v45
	;;#ASMEND
	;;#ASMSTART
	v_dot2_f32_f16 v50, v64, v52, v50
	;;#ASMEND
	;;#ASMSTART
	v_dot2_f32_f16 v50, v65, v53, v50
	;;#ASMEND
	;;#ASMSTART
	v_dot2_f32_f16 v50, v66, v54, v50
	;;#ASMEND
	;;#ASMSTART
	v_dot2_f32_f16 v50, v67, v55, v50
	;;#ASMEND
	;;#ASMSTART
	v_dot2_f32_f16 v46, v64, v68, v46
	;;#ASMEND
	;;#ASMSTART
	v_dot2_f32_f16 v46, v65, v69, v46
	;;#ASMEND
	;;#ASMSTART
	v_dot2_f32_f16 v46, v66, v70, v46
	;;#ASMEND
	;;#ASMSTART
	v_dot2_f32_f16 v46, v67, v71, v46
	;;#ASMEND
	ds_read_b128 v[16:19], v26 offset:20496
	ds_read_b128 v[52:55], v27 offset:528
	;; [unrolled: 1-line block ×6, first 2 shown]
	s_waitcnt lgkmcnt(4)
	;;#ASMSTART
	v_dot2_f32_f16 v47, v16, v52, v47
	;;#ASMEND
	;;#ASMSTART
	v_dot2_f32_f16 v47, v17, v53, v47
	;;#ASMEND
	;; [unrolled: 3-line block ×4, first 2 shown]
	s_waitcnt lgkmcnt(0)
	;;#ASMSTART
	v_dot2_f32_f16 v20, v16, v68, v20
	;;#ASMEND
	;;#ASMSTART
	v_dot2_f32_f16 v20, v17, v69, v20
	;;#ASMEND
	;; [unrolled: 3-line block ×28, first 2 shown]
	ds_read_b128 v[16:19], v26 offset:20512
	ds_read_b128 v[52:55], v27 offset:544
	ds_read_b128 v[56:59], v26 offset:25120
	ds_read_b128 v[60:63], v26 offset:29728
	ds_read_b128 v[64:67], v26 offset:34336
	ds_read_b128 v[68:71], v27 offset:1184
	s_waitcnt lgkmcnt(4)
	;;#ASMSTART
	v_dot2_f32_f16 v47, v16, v52, v47
	;;#ASMEND
	;;#ASMSTART
	v_dot2_f32_f16 v47, v17, v53, v47
	;;#ASMEND
	;; [unrolled: 3-line block ×4, first 2 shown]
	s_waitcnt lgkmcnt(0)
	;;#ASMSTART
	v_dot2_f32_f16 v20, v16, v68, v20
	;;#ASMEND
	;;#ASMSTART
	v_dot2_f32_f16 v20, v17, v69, v20
	;;#ASMEND
	;; [unrolled: 3-line block ×28, first 2 shown]
	ds_read_b128 v[16:19], v26 offset:20528
	ds_read_b128 v[52:55], v27 offset:560
	;; [unrolled: 1-line block ×6, first 2 shown]
	s_waitcnt lgkmcnt(4)
	;;#ASMSTART
	v_dot2_f32_f16 v47, v16, v52, v47
	;;#ASMEND
	;;#ASMSTART
	v_dot2_f32_f16 v47, v17, v53, v47
	;;#ASMEND
	;; [unrolled: 3-line block ×4, first 2 shown]
	s_waitcnt lgkmcnt(0)
	;;#ASMSTART
	v_dot2_f32_f16 v20, v16, v68, v20
	;;#ASMEND
	;;#ASMSTART
	v_dot2_f32_f16 v20, v17, v69, v20
	;;#ASMEND
	;; [unrolled: 3-line block ×28, first 2 shown]
	ds_read_b128 v[16:19], v26 offset:20544
	ds_read_b128 v[52:55], v27 offset:576
	ds_read_b128 v[56:59], v26 offset:25152
	ds_read_b128 v[60:63], v26 offset:29760
	ds_read_b128 v[64:67], v26 offset:34368
	ds_read_b128 v[68:71], v27 offset:1216
	s_waitcnt lgkmcnt(4)
	;;#ASMSTART
	v_dot2_f32_f16 v47, v16, v52, v47
	;;#ASMEND
	;;#ASMSTART
	v_dot2_f32_f16 v47, v17, v53, v47
	;;#ASMEND
	;; [unrolled: 3-line block ×4, first 2 shown]
	s_waitcnt lgkmcnt(0)
	;;#ASMSTART
	v_dot2_f32_f16 v20, v16, v68, v20
	;;#ASMEND
	;;#ASMSTART
	v_dot2_f32_f16 v20, v17, v69, v20
	;;#ASMEND
	;; [unrolled: 3-line block ×28, first 2 shown]
	ds_read_b128 v[16:19], v26 offset:20560
	ds_read_b128 v[52:55], v27 offset:592
	;; [unrolled: 1-line block ×6, first 2 shown]
	s_waitcnt lgkmcnt(4)
	;;#ASMSTART
	v_dot2_f32_f16 v47, v16, v52, v47
	;;#ASMEND
	;;#ASMSTART
	v_dot2_f32_f16 v47, v17, v53, v47
	;;#ASMEND
	;; [unrolled: 3-line block ×4, first 2 shown]
	s_waitcnt lgkmcnt(0)
	;;#ASMSTART
	v_dot2_f32_f16 v20, v16, v68, v20
	;;#ASMEND
	;;#ASMSTART
	v_dot2_f32_f16 v20, v17, v69, v20
	;;#ASMEND
	;;#ASMSTART
	v_dot2_f32_f16 v20, v18, v70, v20
	;;#ASMEND
	;;#ASMSTART
	v_dot2_f32_f16 v20, v19, v71, v20
	;;#ASMEND
	;;#ASMSTART
	v_dot2_f32_f16 v48, v56, v52, v48
	;;#ASMEND
	;;#ASMSTART
	v_dot2_f32_f16 v48, v57, v53, v48
	;;#ASMEND
	;;#ASMSTART
	v_dot2_f32_f16 v48, v58, v54, v48
	;;#ASMEND
	;;#ASMSTART
	v_dot2_f32_f16 v48, v59, v55, v48
	;;#ASMEND
	;;#ASMSTART
	v_dot2_f32_f16 v21, v56, v68, v21
	;;#ASMEND
	;;#ASMSTART
	v_dot2_f32_f16 v21, v57, v69, v21
	;;#ASMEND
	;;#ASMSTART
	v_dot2_f32_f16 v21, v58, v70, v21
	;;#ASMEND
	;;#ASMSTART
	v_dot2_f32_f16 v21, v59, v71, v21
	;;#ASMEND
	;;#ASMSTART
	v_dot2_f32_f16 v49, v60, v52, v49
	;;#ASMEND
	;;#ASMSTART
	v_dot2_f32_f16 v49, v61, v53, v49
	;;#ASMEND
	;;#ASMSTART
	v_dot2_f32_f16 v49, v62, v54, v49
	;;#ASMEND
	;;#ASMSTART
	v_dot2_f32_f16 v49, v63, v55, v49
	;;#ASMEND
	;;#ASMSTART
	v_dot2_f32_f16 v45, v60, v68, v45
	;;#ASMEND
	;;#ASMSTART
	v_dot2_f32_f16 v45, v61, v69, v45
	;;#ASMEND
	;;#ASMSTART
	v_dot2_f32_f16 v45, v62, v70, v45
	;;#ASMEND
	;;#ASMSTART
	v_dot2_f32_f16 v45, v63, v71, v45
	;;#ASMEND
	;;#ASMSTART
	v_dot2_f32_f16 v50, v64, v52, v50
	;;#ASMEND
	;;#ASMSTART
	v_dot2_f32_f16 v50, v65, v53, v50
	;;#ASMEND
	;;#ASMSTART
	v_dot2_f32_f16 v50, v66, v54, v50
	;;#ASMEND
	;;#ASMSTART
	v_dot2_f32_f16 v50, v67, v55, v50
	;;#ASMEND
	;;#ASMSTART
	v_dot2_f32_f16 v46, v64, v68, v46
	;;#ASMEND
	;;#ASMSTART
	v_dot2_f32_f16 v46, v65, v69, v46
	;;#ASMEND
	;;#ASMSTART
	v_dot2_f32_f16 v46, v66, v70, v46
	;;#ASMEND
	;;#ASMSTART
	v_dot2_f32_f16 v46, v67, v71, v46
	;;#ASMEND
	ds_read_b128 v[16:19], v26 offset:20576
	ds_read_b128 v[52:55], v27 offset:608
	;; [unrolled: 1-line block ×6, first 2 shown]
	s_waitcnt lgkmcnt(4)
	;;#ASMSTART
	v_dot2_f32_f16 v47, v16, v52, v47
	;;#ASMEND
	;;#ASMSTART
	v_dot2_f32_f16 v47, v17, v53, v47
	;;#ASMEND
	;; [unrolled: 3-line block ×4, first 2 shown]
	s_waitcnt lgkmcnt(0)
	;;#ASMSTART
	v_dot2_f32_f16 v20, v16, v68, v20
	;;#ASMEND
	;;#ASMSTART
	v_dot2_f32_f16 v20, v17, v69, v20
	;;#ASMEND
	;;#ASMSTART
	v_dot2_f32_f16 v20, v18, v70, v20
	;;#ASMEND
	;;#ASMSTART
	v_dot2_f32_f16 v20, v19, v71, v20
	;;#ASMEND
	;;#ASMSTART
	v_dot2_f32_f16 v48, v56, v52, v48
	;;#ASMEND
	;;#ASMSTART
	v_dot2_f32_f16 v48, v57, v53, v48
	;;#ASMEND
	;;#ASMSTART
	v_dot2_f32_f16 v48, v58, v54, v48
	;;#ASMEND
	;;#ASMSTART
	v_dot2_f32_f16 v48, v59, v55, v48
	;;#ASMEND
	;;#ASMSTART
	v_dot2_f32_f16 v21, v56, v68, v21
	;;#ASMEND
	;;#ASMSTART
	v_dot2_f32_f16 v21, v57, v69, v21
	;;#ASMEND
	;;#ASMSTART
	v_dot2_f32_f16 v21, v58, v70, v21
	;;#ASMEND
	;;#ASMSTART
	v_dot2_f32_f16 v21, v59, v71, v21
	;;#ASMEND
	;;#ASMSTART
	v_dot2_f32_f16 v49, v60, v52, v49
	;;#ASMEND
	;;#ASMSTART
	v_dot2_f32_f16 v49, v61, v53, v49
	;;#ASMEND
	;;#ASMSTART
	v_dot2_f32_f16 v49, v62, v54, v49
	;;#ASMEND
	;;#ASMSTART
	v_dot2_f32_f16 v49, v63, v55, v49
	;;#ASMEND
	;;#ASMSTART
	v_dot2_f32_f16 v45, v60, v68, v45
	;;#ASMEND
	;;#ASMSTART
	v_dot2_f32_f16 v45, v61, v69, v45
	;;#ASMEND
	;;#ASMSTART
	v_dot2_f32_f16 v45, v62, v70, v45
	;;#ASMEND
	;;#ASMSTART
	v_dot2_f32_f16 v45, v63, v71, v45
	;;#ASMEND
	;;#ASMSTART
	v_dot2_f32_f16 v50, v64, v52, v50
	;;#ASMEND
	;;#ASMSTART
	v_dot2_f32_f16 v50, v65, v53, v50
	;;#ASMEND
	;;#ASMSTART
	v_dot2_f32_f16 v50, v66, v54, v50
	;;#ASMEND
	;;#ASMSTART
	v_dot2_f32_f16 v50, v67, v55, v50
	;;#ASMEND
	;;#ASMSTART
	v_dot2_f32_f16 v46, v64, v68, v46
	;;#ASMEND
	;;#ASMSTART
	v_dot2_f32_f16 v46, v65, v69, v46
	;;#ASMEND
	;;#ASMSTART
	v_dot2_f32_f16 v46, v66, v70, v46
	;;#ASMEND
	;;#ASMSTART
	v_dot2_f32_f16 v46, v67, v71, v46
	;;#ASMEND
	ds_read_b128 v[16:19], v26 offset:20592
	ds_read_b128 v[52:55], v27 offset:624
	;; [unrolled: 1-line block ×6, first 2 shown]
	s_waitcnt lgkmcnt(4)
	;;#ASMSTART
	v_dot2_f32_f16 v47, v16, v52, v47
	;;#ASMEND
	;;#ASMSTART
	v_dot2_f32_f16 v47, v17, v53, v47
	;;#ASMEND
	;; [unrolled: 3-line block ×4, first 2 shown]
	s_waitcnt lgkmcnt(0)
	;;#ASMSTART
	v_dot2_f32_f16 v20, v16, v68, v20
	;;#ASMEND
	;;#ASMSTART
	v_dot2_f32_f16 v20, v17, v69, v20
	;;#ASMEND
	;; [unrolled: 3-line block ×27, first 2 shown]
	v_cmp_nlt_f32_e64 s[10:11], |v47|, s24
	;;#ASMSTART
	v_dot2_f32_f16 v46, v67, v71, v46
	;;#ASMEND
                                        ; implicit-def: $vgpr18
	s_and_saveexec_b64 s[36:37], s[10:11]
	s_xor_b64 s[10:11], exec, s[36:37]
	s_cbranch_execz .LBB5_16
; %bb.15:                               ;   in Loop: Header=BB5_14 Depth=1
	v_add_f32_e64 v16, |v47|, |v47|
	v_mul_f32_e32 v17, 0x3fb8aa3b, v16
	v_rndne_f32_e32 v18, v17
	v_sub_f32_e32 v19, v17, v18
	v_fma_f32 v17, v16, s25, -v17
	v_fmac_f32_e32 v17, 0x32a5705f, v16
	v_add_f32_e32 v17, v19, v17
	v_cvt_i32_f32_e32 v18, v18
	v_exp_f32_e32 v17, v17
	v_cmp_ngt_f32_e32 vcc, s26, v16
	v_ldexp_f32 v17, v17, v18
	v_cndmask_b32_e32 v17, 0, v17, vcc
	v_cmp_nlt_f32_e32 vcc, s27, v16
	v_cndmask_b32_e32 v16, v36, v17, vcc
	v_add_f32_e32 v16, 1.0, v16
	v_rcp_f32_e32 v16, v16
	v_fma_f32 v18, v16, -2.0, 1.0
.LBB5_16:                               ;   in Loop: Header=BB5_14 Depth=1
	s_andn2_saveexec_b64 s[10:11], s[10:11]
; %bb.17:                               ;   in Loop: Header=BB5_14 Depth=1
	v_mul_f32_e32 v16, v47, v47
	v_mov_b32_e32 v17, 0x3ca908c9
	v_fmac_f32_e32 v17, 0xbbbac73d, v16
	v_fma_f32 v17, v16, v17, v33
	v_fma_f32 v17, v16, v17, v34
	;; [unrolled: 1-line block ×3, first 2 shown]
	v_mul_f32_e64 v17, |v47|, v17
	v_fma_f32 v18, v16, v17, |v47|
; %bb.18:                               ;   in Loop: Header=BB5_14 Depth=1
	s_or_b64 exec, exec, s[10:11]
	v_add_u32_e32 v16, s6, v6
	v_ashrrev_i32_e32 v17, 31, v16
	v_lshlrev_b64 v[16:17], 1, v[16:17]
	v_mov_b32_e32 v19, s31
	v_add_co_u32_e32 v16, vcc, s30, v16
	v_addc_co_u32_e32 v17, vcc, v19, v17, vcc
	flat_load_ushort v19, v[16:17]
	v_cmp_nlt_f32_e64 s[10:11], |v48|, s24
                                        ; implicit-def: $vgpr51
	s_and_saveexec_b64 s[36:37], s[10:11]
	s_xor_b64 s[10:11], exec, s[36:37]
	s_cbranch_execz .LBB5_20
; %bb.19:                               ;   in Loop: Header=BB5_14 Depth=1
	v_add_f32_e64 v51, |v48|, |v48|
	v_mul_f32_e32 v52, 0x3fb8aa3b, v51
	v_rndne_f32_e32 v53, v52
	v_sub_f32_e32 v54, v52, v53
	v_fma_f32 v52, v51, s25, -v52
	v_fmac_f32_e32 v52, 0x32a5705f, v51
	v_add_f32_e32 v52, v54, v52
	v_cvt_i32_f32_e32 v53, v53
	v_exp_f32_e32 v52, v52
	v_cmp_ngt_f32_e32 vcc, s26, v51
	v_ldexp_f32 v52, v52, v53
	v_cndmask_b32_e32 v52, 0, v52, vcc
	v_cmp_nlt_f32_e32 vcc, s27, v51
	v_cndmask_b32_e32 v51, v36, v52, vcc
	v_add_f32_e32 v51, 1.0, v51
	v_rcp_f32_e32 v51, v51
	v_fma_f32 v51, v51, -2.0, 1.0
.LBB5_20:                               ;   in Loop: Header=BB5_14 Depth=1
	s_andn2_saveexec_b64 s[10:11], s[10:11]
; %bb.21:                               ;   in Loop: Header=BB5_14 Depth=1
	v_mul_f32_e32 v51, v48, v48
	v_mov_b32_e32 v52, 0x3ca908c9
	v_fmac_f32_e32 v52, 0xbbbac73d, v51
	v_fma_f32 v52, v51, v52, v33
	v_fma_f32 v52, v51, v52, v34
	;; [unrolled: 1-line block ×3, first 2 shown]
	v_mul_f32_e64 v52, |v48|, v52
	v_fma_f32 v51, v51, v52, |v48|
; %bb.22:                               ;   in Loop: Header=BB5_14 Depth=1
	s_or_b64 exec, exec, s[10:11]
	flat_load_ushort v53, v[16:17] offset:64
	v_cmp_nlt_f32_e64 s[10:11], |v49|, s24
                                        ; implicit-def: $vgpr52
	s_and_saveexec_b64 s[36:37], s[10:11]
	s_xor_b64 s[10:11], exec, s[36:37]
	s_cbranch_execz .LBB5_24
; %bb.23:                               ;   in Loop: Header=BB5_14 Depth=1
	v_add_f32_e64 v52, |v49|, |v49|
	v_mul_f32_e32 v54, 0x3fb8aa3b, v52
	v_rndne_f32_e32 v55, v54
	v_sub_f32_e32 v56, v54, v55
	v_fma_f32 v54, v52, s25, -v54
	v_fmac_f32_e32 v54, 0x32a5705f, v52
	v_add_f32_e32 v54, v56, v54
	v_cvt_i32_f32_e32 v55, v55
	v_exp_f32_e32 v54, v54
	v_cmp_ngt_f32_e32 vcc, s26, v52
	v_ldexp_f32 v54, v54, v55
	v_cndmask_b32_e32 v54, 0, v54, vcc
	v_cmp_nlt_f32_e32 vcc, s27, v52
	v_cndmask_b32_e32 v52, v36, v54, vcc
	v_add_f32_e32 v52, 1.0, v52
	v_rcp_f32_e32 v52, v52
	v_fma_f32 v52, v52, -2.0, 1.0
.LBB5_24:                               ;   in Loop: Header=BB5_14 Depth=1
	s_andn2_saveexec_b64 s[10:11], s[10:11]
; %bb.25:                               ;   in Loop: Header=BB5_14 Depth=1
	v_mul_f32_e32 v52, v49, v49
	v_mov_b32_e32 v54, 0x3ca908c9
	v_fmac_f32_e32 v54, 0xbbbac73d, v52
	v_fma_f32 v54, v52, v54, v33
	v_fma_f32 v54, v52, v54, v34
	;; [unrolled: 1-line block ×3, first 2 shown]
	v_mul_f32_e64 v54, |v49|, v54
	v_fma_f32 v52, v52, v54, |v49|
; %bb.26:                               ;   in Loop: Header=BB5_14 Depth=1
	s_or_b64 exec, exec, s[10:11]
	flat_load_ushort v54, v[16:17] offset:128
	v_cmp_nlt_f32_e64 s[10:11], |v50|, s24
                                        ; implicit-def: $vgpr58
	s_and_saveexec_b64 s[36:37], s[10:11]
	s_xor_b64 s[10:11], exec, s[36:37]
	s_cbranch_execz .LBB5_28
; %bb.27:                               ;   in Loop: Header=BB5_14 Depth=1
	v_add_f32_e64 v55, |v50|, |v50|
	v_mul_f32_e32 v56, 0x3fb8aa3b, v55
	v_rndne_f32_e32 v57, v56
	v_sub_f32_e32 v58, v56, v57
	v_fma_f32 v56, v55, s25, -v56
	v_fmac_f32_e32 v56, 0x32a5705f, v55
	v_add_f32_e32 v56, v58, v56
	v_cvt_i32_f32_e32 v57, v57
	v_exp_f32_e32 v56, v56
	v_cmp_ngt_f32_e32 vcc, s26, v55
	v_ldexp_f32 v56, v56, v57
	v_cndmask_b32_e32 v56, 0, v56, vcc
	v_cmp_nlt_f32_e32 vcc, s27, v55
	v_cndmask_b32_e32 v55, v36, v56, vcc
	v_add_f32_e32 v55, 1.0, v55
	v_rcp_f32_e32 v55, v55
	v_fma_f32 v58, v55, -2.0, 1.0
.LBB5_28:                               ;   in Loop: Header=BB5_14 Depth=1
	s_andn2_saveexec_b64 s[10:11], s[10:11]
; %bb.29:                               ;   in Loop: Header=BB5_14 Depth=1
	v_mul_f32_e32 v55, v50, v50
	v_mov_b32_e32 v56, 0x3ca908c9
	v_fmac_f32_e32 v56, 0xbbbac73d, v55
	v_fma_f32 v56, v55, v56, v33
	v_fma_f32 v56, v55, v56, v34
	;; [unrolled: 1-line block ×3, first 2 shown]
	v_mul_f32_e64 v56, |v50|, v56
	v_fma_f32 v58, v55, v56, |v50|
; %bb.30:                               ;   in Loop: Header=BB5_14 Depth=1
	s_or_b64 exec, exec, s[10:11]
	flat_load_ushort v17, v[16:17] offset:192
	v_bfi_b32 v16, s34, v18, v47
	v_bfi_b32 v18, s34, v51, v48
	s_waitcnt vmcnt(0) lgkmcnt(0)
	v_fma_mix_f32 v56, v16, s0, v19 op_sel_hi:[0,0,1]
	v_fma_mix_f32 v55, v18, s0, v53 op_sel_hi:[0,0,1]
	v_add_f32_e32 v16, 0x40051340, v56
	v_add_f32_e32 v18, 0x40051340, v55
	v_max3_f32 v48, v2, v16, v18
	v_bfi_b32 v16, s34, v52, v49
	v_fma_mix_f32 v18, v16, s0, v54 op_sel_hi:[0,0,1]
	v_and_b32_e32 v16, 0x60, v7
	v_add_u32_e32 v47, 32, v16
	v_xor_b32_e32 v52, 16, v7
	v_cmp_lt_i32_e32 vcc, v52, v47
	v_cndmask_b32_e32 v16, v7, v52, vcc
	v_lshlrev_b32_e32 v57, 2, v16
	v_bfi_b32 v16, s34, v58, v50
	v_add_f32_e32 v49, 0x40051340, v18
	v_cmp_nlt_f32_e64 s[10:11], |v20|, s24
                                        ; implicit-def: $vgpr64
	v_fma_mix_f32 v16, v16, s0, v17 op_sel_hi:[0,0,1]
	v_add_f32_e32 v50, 0x40051340, v16
	v_max3_f32 v49, v48, v49, v50
	ds_bpermute_b32 v50, v57, v49
	v_xor_b32_e32 v48, 8, v7
	v_cmp_lt_i32_e32 vcc, v48, v47
	v_cndmask_b32_e32 v51, v7, v48, vcc
	v_lshlrev_b32_e32 v58, 2, v51
	s_waitcnt lgkmcnt(0)
	v_max_f32_e32 v50, v50, v50
	v_max_f32_e32 v50, v49, v50
	ds_bpermute_b32 v51, v58, v50
	v_xor_b32_e32 v49, 4, v7
	v_cmp_lt_i32_e32 vcc, v49, v47
	v_cndmask_b32_e32 v59, v7, v49, vcc
	v_lshlrev_b32_e32 v60, 2, v59
	s_waitcnt lgkmcnt(0)
	v_max_f32_e32 v51, v51, v51
	v_max_f32_e32 v51, v50, v51
	;; [unrolled: 8-line block ×4, first 2 shown]
	ds_bpermute_b32 v63, v59, v62
	s_and_saveexec_b64 s[36:37], s[10:11]
	s_xor_b64 s[10:11], exec, s[36:37]
	s_cbranch_execz .LBB5_32
; %bb.31:                               ;   in Loop: Header=BB5_14 Depth=1
	v_add_f32_e64 v64, |v20|, |v20|
	v_mul_f32_e32 v65, 0x3fb8aa3b, v64
	v_rndne_f32_e32 v66, v65
	v_sub_f32_e32 v67, v65, v66
	v_fma_f32 v65, v64, s25, -v65
	v_fmac_f32_e32 v65, 0x32a5705f, v64
	v_add_f32_e32 v65, v67, v65
	v_cvt_i32_f32_e32 v66, v66
	v_exp_f32_e32 v65, v65
	v_cmp_ngt_f32_e32 vcc, s26, v64
	v_ldexp_f32 v65, v65, v66
	v_cndmask_b32_e32 v65, 0, v65, vcc
	v_cmp_nlt_f32_e32 vcc, s27, v64
	v_cndmask_b32_e32 v64, v36, v65, vcc
	v_add_f32_e32 v64, 1.0, v64
	v_rcp_f32_e32 v64, v64
	v_fma_f32 v64, v64, -2.0, 1.0
.LBB5_32:                               ;   in Loop: Header=BB5_14 Depth=1
	s_andn2_saveexec_b64 s[10:11], s[10:11]
; %bb.33:                               ;   in Loop: Header=BB5_14 Depth=1
	v_mul_f32_e32 v64, v20, v20
	v_mov_b32_e32 v65, 0x3ca908c9
	v_fmac_f32_e32 v65, 0xbbbac73d, v64
	v_fma_f32 v65, v64, v65, v33
	v_fma_f32 v65, v64, v65, v34
	;; [unrolled: 1-line block ×3, first 2 shown]
	v_mul_f32_e64 v65, |v20|, v65
	v_fma_f32 v64, v64, v65, |v20|
; %bb.34:                               ;   in Loop: Header=BB5_14 Depth=1
	s_or_b64 exec, exec, s[10:11]
	v_cmp_nlt_f32_e64 s[10:11], |v21|, s24
                                        ; implicit-def: $vgpr65
	s_and_saveexec_b64 s[36:37], s[10:11]
	s_xor_b64 s[10:11], exec, s[36:37]
	s_cbranch_execz .LBB5_36
; %bb.35:                               ;   in Loop: Header=BB5_14 Depth=1
	v_add_f32_e64 v65, |v21|, |v21|
	v_mul_f32_e32 v66, 0x3fb8aa3b, v65
	v_rndne_f32_e32 v67, v66
	v_sub_f32_e32 v68, v66, v67
	v_fma_f32 v66, v65, s25, -v66
	v_fmac_f32_e32 v66, 0x32a5705f, v65
	v_add_f32_e32 v66, v68, v66
	v_cvt_i32_f32_e32 v67, v67
	v_exp_f32_e32 v66, v66
	v_cmp_ngt_f32_e32 vcc, s26, v65
	v_ldexp_f32 v66, v66, v67
	v_cndmask_b32_e32 v66, 0, v66, vcc
	v_cmp_nlt_f32_e32 vcc, s27, v65
	v_cndmask_b32_e32 v65, v36, v66, vcc
	v_add_f32_e32 v65, 1.0, v65
	v_rcp_f32_e32 v65, v65
	v_fma_f32 v65, v65, -2.0, 1.0
.LBB5_36:                               ;   in Loop: Header=BB5_14 Depth=1
	s_andn2_saveexec_b64 s[10:11], s[10:11]
; %bb.37:                               ;   in Loop: Header=BB5_14 Depth=1
	v_mul_f32_e32 v65, v21, v21
	v_mov_b32_e32 v66, 0x3ca908c9
	v_fmac_f32_e32 v66, 0xbbbac73d, v65
	v_fma_f32 v66, v65, v66, v33
	v_fma_f32 v66, v65, v66, v34
	;; [unrolled: 1-line block ×3, first 2 shown]
	v_mul_f32_e64 v66, |v21|, v66
	v_fma_f32 v65, v65, v66, |v21|
; %bb.38:                               ;   in Loop: Header=BB5_14 Depth=1
	s_or_b64 exec, exec, s[10:11]
	v_cmp_nlt_f32_e64 s[10:11], |v45|, s24
                                        ; implicit-def: $vgpr66
	s_and_saveexec_b64 s[36:37], s[10:11]
	s_xor_b64 s[10:11], exec, s[36:37]
	s_cbranch_execz .LBB5_40
; %bb.39:                               ;   in Loop: Header=BB5_14 Depth=1
	v_add_f32_e64 v66, |v45|, |v45|
	v_mul_f32_e32 v67, 0x3fb8aa3b, v66
	v_rndne_f32_e32 v68, v67
	v_sub_f32_e32 v69, v67, v68
	v_fma_f32 v67, v66, s25, -v67
	v_fmac_f32_e32 v67, 0x32a5705f, v66
	v_add_f32_e32 v67, v69, v67
	v_cvt_i32_f32_e32 v68, v68
	v_exp_f32_e32 v67, v67
	v_cmp_ngt_f32_e32 vcc, s26, v66
	v_ldexp_f32 v67, v67, v68
	v_cndmask_b32_e32 v67, 0, v67, vcc
	v_cmp_nlt_f32_e32 vcc, s27, v66
	v_cndmask_b32_e32 v66, v36, v67, vcc
	v_add_f32_e32 v66, 1.0, v66
	v_rcp_f32_e32 v66, v66
	v_fma_f32 v66, v66, -2.0, 1.0
.LBB5_40:                               ;   in Loop: Header=BB5_14 Depth=1
	s_andn2_saveexec_b64 s[10:11], s[10:11]
; %bb.41:                               ;   in Loop: Header=BB5_14 Depth=1
	v_mul_f32_e32 v66, v45, v45
	v_mov_b32_e32 v67, 0x3ca908c9
	v_fmac_f32_e32 v67, 0xbbbac73d, v66
	v_fma_f32 v67, v66, v67, v33
	v_fma_f32 v67, v66, v67, v34
	;; [unrolled: 1-line block ×3, first 2 shown]
	v_mul_f32_e64 v67, |v45|, v67
	v_fma_f32 v66, v66, v67, |v45|
; %bb.42:                               ;   in Loop: Header=BB5_14 Depth=1
	s_or_b64 exec, exec, s[10:11]
	v_cmp_nlt_f32_e64 s[10:11], |v46|, s24
                                        ; implicit-def: $vgpr67
	s_and_saveexec_b64 s[36:37], s[10:11]
	s_xor_b64 s[10:11], exec, s[36:37]
	s_cbranch_execz .LBB5_44
; %bb.43:                               ;   in Loop: Header=BB5_14 Depth=1
	v_add_f32_e64 v67, |v46|, |v46|
	v_mul_f32_e32 v68, 0x3fb8aa3b, v67
	v_rndne_f32_e32 v69, v68
	v_sub_f32_e32 v70, v68, v69
	v_fma_f32 v68, v67, s25, -v68
	v_fmac_f32_e32 v68, 0x32a5705f, v67
	v_add_f32_e32 v68, v70, v68
	v_cvt_i32_f32_e32 v69, v69
	v_exp_f32_e32 v68, v68
	v_cmp_ngt_f32_e32 vcc, s26, v67
	v_ldexp_f32 v68, v68, v69
	v_cndmask_b32_e32 v68, 0, v68, vcc
	v_cmp_nlt_f32_e32 vcc, s27, v67
	v_cndmask_b32_e32 v67, v36, v68, vcc
	v_add_f32_e32 v67, 1.0, v67
	v_rcp_f32_e32 v67, v67
	v_fma_f32 v67, v67, -2.0, 1.0
.LBB5_44:                               ;   in Loop: Header=BB5_14 Depth=1
	s_andn2_saveexec_b64 s[10:11], s[10:11]
	s_cbranch_execz .LBB5_13
; %bb.45:                               ;   in Loop: Header=BB5_14 Depth=1
	v_mul_f32_e32 v67, v46, v46
	v_mov_b32_e32 v68, 0x3ca908c9
	v_fmac_f32_e32 v68, 0xbbbac73d, v67
	v_fma_f32 v68, v67, v68, v33
	v_fma_f32 v68, v67, v68, v34
	;; [unrolled: 1-line block ×3, first 2 shown]
	v_mul_f32_e64 v68, |v46|, v68
	v_fma_f32 v67, v67, v68, |v46|
	s_branch .LBB5_13
.LBB5_46:
	v_cmp_lt_i32_e32 vcc, v52, v47
	v_cndmask_b32_e32 v6, v7, v52, vcc
	v_lshlrev_b32_e32 v6, 2, v6
	ds_bpermute_b32 v8, v6, v4
	ds_bpermute_b32 v9, v6, v5
	v_cmp_lt_i32_e32 vcc, v48, v47
	v_cndmask_b32_e32 v6, v7, v48, vcc
	v_lshlrev_b32_e32 v6, 2, v6
	v_cmp_lt_i32_e32 vcc, v49, v47
	s_waitcnt lgkmcnt(0)
	v_pk_add_f32 v[4:5], v[4:5], v[8:9]
	ds_bpermute_b32 v8, v6, v4
	ds_bpermute_b32 v9, v6, v5
	v_cndmask_b32_e32 v6, v7, v49, vcc
	v_lshlrev_b32_e32 v6, 2, v6
	v_cmp_lt_i32_e32 vcc, v50, v47
	s_cmp_lg_u64 s[16:17], 0
	s_waitcnt lgkmcnt(0)
	v_pk_add_f32 v[4:5], v[4:5], v[8:9]
	ds_bpermute_b32 v8, v6, v4
	ds_bpermute_b32 v9, v6, v5
	v_cndmask_b32_e32 v6, v7, v50, vcc
	v_lshlrev_b32_e32 v6, 2, v6
	v_cmp_lt_i32_e32 vcc, v51, v47
	s_cselect_b64 s[8:9], -1, 0
	s_waitcnt lgkmcnt(0)
	v_pk_add_f32 v[4:5], v[4:5], v[8:9]
	ds_bpermute_b32 v8, v6, v4
	ds_bpermute_b32 v9, v6, v5
	v_cndmask_b32_e32 v6, v7, v51, vcc
	v_lshlrev_b32_e32 v7, 2, v6
	s_cmp_eq_u32 s7, 0
	s_cselect_b64 s[10:11], -1, 0
	s_waitcnt lgkmcnt(0)
	v_pk_add_f32 v[4:5], v[4:5], v[8:9]
	ds_bpermute_b32 v6, v7, v4
	ds_bpermute_b32 v7, v7, v5
	s_and_b64 s[8:9], s[10:11], s[8:9]
	s_mov_b64 s[0:1], 0
	s_and_b64 vcc, exec, s[8:9]
	v_add_u32_e32 v8, s29, v23
	s_waitcnt lgkmcnt(0)
	v_pk_add_f32 v[4:5], v[4:5], v[6:7]
	s_cbranch_vccnz .LBB5_48
; %bb.47:
	v_add_u32_e32 v6, s29, v23
	s_andn2_b64 vcc, exec, s[0:1]
	s_cbranch_vccz .LBB5_49
	s_branch .LBB5_50
.LBB5_48:
                                        ; implicit-def: $vgpr6
.LBB5_49:
	v_ashrrev_i32_e32 v9, 31, v8
	v_lshlrev_b64 v[6:7], 2, v[8:9]
	v_mov_b32_e32 v9, s17
	v_add_co_u32_e32 v6, vcc, s16, v6
	v_addc_co_u32_e32 v7, vcc, v9, v7, vcc
	global_load_dwordx2 v[10:11], v[6:7], off
	v_max_f32_e32 v7, v3, v3
	v_max_f32_e32 v12, v2, v2
	v_mov_b32_e32 v6, v8
	s_mov_b32 s0, 0x3fb8aa3b
	s_mov_b32 s1, 0xc2ce8ed0
	;; [unrolled: 1-line block ×3, first 2 shown]
	v_mov_b32_e32 v13, 0x7f800000
	s_waitcnt vmcnt(0)
	v_max_f32_e32 v8, v11, v11
	v_max_f32_e32 v14, v10, v10
	;; [unrolled: 1-line block ×4, first 2 shown]
	v_pk_add_f32 v[2:3], v[2:3], v[8:9] neg_lo:[0,1] neg_hi:[0,1]
	v_mul_f32_e32 v7, 0x3fb8aa3b, v3
	v_pk_add_f32 v[10:11], v[10:11], v[8:9] neg_lo:[0,1] neg_hi:[0,1]
	v_mul_f32_e32 v12, 0x3fb8aa3b, v2
	v_fma_f32 v16, v3, s0, -v7
	v_rndne_f32_e32 v17, v7
	v_mul_f32_e32 v14, 0x3fb8aa3b, v11
	v_fma_f32 v18, v2, s0, -v12
	v_rndne_f32_e32 v19, v12
	v_fmac_f32_e32 v16, 0x32a5705f, v3
	v_sub_f32_e32 v7, v7, v17
	v_mul_f32_e32 v15, 0x3fb8aa3b, v10
	v_fma_f32 v20, v11, s0, -v14
	v_rndne_f32_e32 v21, v14
	v_fmac_f32_e32 v18, 0x32a5705f, v2
	v_sub_f32_e32 v12, v12, v19
	v_add_f32_e32 v7, v7, v16
	v_fma_f32 v23, v10, s0, -v15
	v_rndne_f32_e32 v24, v15
	v_cvt_i32_f32_e32 v17, v17
	v_fmac_f32_e32 v20, 0x32a5705f, v11
	v_sub_f32_e32 v14, v14, v21
	v_add_f32_e32 v12, v12, v18
	v_exp_f32_e32 v7, v7
	v_cvt_i32_f32_e32 v19, v19
	v_fmac_f32_e32 v23, 0x32a5705f, v10
	v_sub_f32_e32 v15, v15, v24
	v_add_f32_e32 v14, v14, v20
	v_exp_f32_e32 v12, v12
	v_cvt_i32_f32_e32 v21, v21
	v_add_f32_e32 v15, v15, v23
	v_exp_f32_e32 v14, v14
	v_cvt_i32_f32_e32 v24, v24
	v_exp_f32_e32 v15, v15
	v_ldexp_f32 v7, v7, v17
	v_cmp_ngt_f32_e32 vcc, s1, v3
	v_ldexp_f32 v12, v12, v19
	v_cndmask_b32_e32 v7, 0, v7, vcc
	v_cmp_ngt_f32_e32 vcc, s1, v2
	v_ldexp_f32 v14, v14, v21
	v_cndmask_b32_e32 v12, 0, v12, vcc
	;; [unrolled: 3-line block ×3, first 2 shown]
	v_cmp_ngt_f32_e32 vcc, s1, v10
	v_cndmask_b32_e32 v15, 0, v15, vcc
	v_cmp_nlt_f32_e32 vcc, s6, v3
	v_cndmask_b32_e32 v3, v13, v7, vcc
	v_cmp_nlt_f32_e32 vcc, s6, v2
	;; [unrolled: 2-line block ×4, first 2 shown]
	v_cndmask_b32_e32 v10, v13, v15, vcc
	v_cvt_f16_f32_e32 v7, v2
	v_pk_fma_f32 v[4:5], v[4:5], v[2:3], v[10:11]
	v_cvt_f16_f32_e32 v2, v3
	v_pk_mul_f16 v42, v7, v42 op_sel_hi:[0,1]
	v_pk_mul_f16 v41, v7, v41 op_sel_hi:[0,1]
	;; [unrolled: 1-line block ×8, first 2 shown]
	v_pk_mov_b32 v[2:3], v[8:9], v[8:9] op_sel:[0,1]
.LBB5_50:
	s_load_dword s6, s[4:5], 0xd4
	v_mov_b32_e32 v8, 1.0
	s_waitcnt lgkmcnt(0)
	s_cmp_lg_u32 s6, 1
	s_cselect_b64 s[0:1], -1, 0
	s_cmp_eq_u32 s6, 1
	s_cselect_b64 s[4:5], -1, 0
	s_and_b64 vcc, exec, s[0:1]
	s_cbranch_vccnz .LBB5_52
; %bb.51:
	v_div_scale_f32 v7, s[8:9], v4, v4, 1.0
	v_rcp_f32_e32 v8, v7
	v_div_scale_f32 v9, vcc, 1.0, v4, 1.0
	v_fma_f32 v10, -v7, v8, 1.0
	v_fmac_f32_e32 v8, v10, v8
	v_mul_f32_e32 v10, v9, v8
	v_fma_f32 v11, -v7, v10, v9
	v_fmac_f32_e32 v10, v11, v8
	v_fma_f32 v7, -v7, v10, v9
	v_div_fmas_f32 v7, v7, v8, v10
	v_div_fixup_f32 v8, v7, v4, 1.0
.LBB5_52:
	s_mul_i32 s33, s33, s2
	v_add_u32_e32 v1, s33, v1
	v_mad_u64_u32 v[6:7], s[2:3], v1, s3, v[6:7]
	v_cmp_eq_u32_e32 vcc, 0, v0
	v_mul_lo_u32 v0, s6, v6
	v_add_u32_e32 v0, s7, v0
	v_cvt_f32_f16_sdwa v13, v42 dst_sel:DWORD dst_unused:UNUSED_PAD src0_sel:WORD_1
	v_cvt_f32_f16_e32 v12, v42
	v_cvt_f32_f16_sdwa v15, v41 dst_sel:DWORD dst_unused:UNUSED_PAD src0_sel:WORD_1
	v_cvt_f32_f16_e32 v14, v41
	v_lshl_add_u32 v6, v0, 8, v22
	v_mov_b32_e32 v7, 0
	v_lshlrev_b64 v[10:11], 2, v[6:7]
	s_and_b64 s[0:1], vcc, s[0:1]
	v_mov_b32_e32 v1, s21
	v_add_co_u32_e32 v16, vcc, s20, v10
	v_addc_co_u32_e32 v17, vcc, v1, v11, vcc
	v_pk_mul_f32 v[10:11], v[8:9], v[12:13] op_sel_hi:[0,1]
	v_pk_mul_f32 v[12:13], v[8:9], v[14:15] op_sel_hi:[0,1]
	global_store_dwordx4 v[16:17], v[10:13], off
	v_add_u32_e32 v6, 0x80, v6
	v_cvt_f32_f16_sdwa v11, v44 dst_sel:DWORD dst_unused:UNUSED_PAD src0_sel:WORD_1
	v_cvt_f32_f16_e32 v10, v44
	v_cvt_f32_f16_sdwa v13, v43 dst_sel:DWORD dst_unused:UNUSED_PAD src0_sel:WORD_1
	v_cvt_f32_f16_e32 v12, v43
	v_lshlrev_b64 v[6:7], 2, v[6:7]
	v_add_co_u32_e32 v14, vcc, s20, v6
	v_addc_co_u32_e32 v15, vcc, v1, v7, vcc
	v_pk_mul_f32 v[6:7], v[8:9], v[10:11] op_sel_hi:[0,1]
	v_pk_mul_f32 v[8:9], v[8:9], v[12:13] op_sel_hi:[0,1]
	global_store_dwordx4 v[14:15], v[6:9], off
	s_and_saveexec_b64 s[2:3], s[0:1]
	s_cbranch_execz .LBB5_54
; %bb.53:
	v_ashrrev_i32_e32 v1, 31, v0
	v_lshlrev_b64 v[6:7], 3, v[0:1]
	v_mov_b32_e32 v1, s23
	v_add_co_u32_e32 v6, vcc, s22, v6
	v_addc_co_u32_e32 v7, vcc, v1, v7, vcc
	v_mov_b32_e32 v8, v2
	v_mov_b32_e32 v9, v4
	global_store_dwordx2 v[6:7], v[8:9], off
.LBB5_54:
	s_or_b64 exec, exec, s[2:3]
	s_andn2_b64 vcc, exec, s[4:5]
	v_mov_b32_e32 v2, 1.0
	s_cbranch_vccnz .LBB5_56
; %bb.55:
	v_div_scale_f32 v1, s[2:3], v5, v5, 1.0
	v_rcp_f32_e32 v2, v1
	v_div_scale_f32 v4, vcc, 1.0, v5, 1.0
	v_fma_f32 v6, -v1, v2, 1.0
	v_fmac_f32_e32 v2, v6, v2
	v_mul_f32_e32 v6, v4, v2
	v_fma_f32 v7, -v1, v6, v4
	v_fmac_f32_e32 v6, v7, v2
	v_fma_f32 v1, -v1, v6, v4
	v_div_fmas_f32 v1, v1, v2, v6
	v_div_fixup_f32 v2, v1, v5, 1.0
.LBB5_56:
	v_add_u32_e32 v0, s6, v0
	v_cvt_f32_f16_sdwa v9, v38 dst_sel:DWORD dst_unused:UNUSED_PAD src0_sel:WORD_1
	v_cvt_f32_f16_e32 v8, v38
	v_cvt_f32_f16_sdwa v13, v40 dst_sel:DWORD dst_unused:UNUSED_PAD src0_sel:WORD_1
	v_cvt_f32_f16_e32 v12, v40
	v_lshl_add_u32 v10, v0, 8, v22
	v_mov_b32_e32 v11, 0
	v_lshlrev_b64 v[6:7], 2, v[10:11]
	v_mov_b32_e32 v1, s21
	v_add_co_u32_e32 v14, vcc, s20, v6
	v_addc_co_u32_e32 v15, vcc, v1, v7, vcc
	v_pk_mul_f32 v[6:7], v[2:3], v[8:9] op_sel_hi:[0,1]
	v_pk_mul_f32 v[8:9], v[2:3], v[12:13] op_sel_hi:[0,1]
	v_add_u32_e32 v10, 0x80, v10
	global_store_dwordx4 v[14:15], v[6:9], off
	s_nop 0
	v_lshlrev_b64 v[6:7], 2, v[10:11]
	v_cvt_f32_f16_sdwa v9, v39 dst_sel:DWORD dst_unused:UNUSED_PAD src0_sel:WORD_1
	v_cvt_f32_f16_e32 v8, v39
	v_cvt_f32_f16_sdwa v11, v37 dst_sel:DWORD dst_unused:UNUSED_PAD src0_sel:WORD_1
	v_cvt_f32_f16_e32 v10, v37
	v_add_co_u32_e32 v12, vcc, s20, v6
	v_addc_co_u32_e32 v13, vcc, v1, v7, vcc
	v_pk_mul_f32 v[6:7], v[2:3], v[8:9] op_sel_hi:[0,1]
	v_pk_mul_f32 v[8:9], v[2:3], v[10:11] op_sel_hi:[0,1]
	global_store_dwordx4 v[12:13], v[6:9], off
	s_and_saveexec_b64 s[2:3], s[0:1]
	s_cbranch_execz .LBB5_58
; %bb.57:
	v_ashrrev_i32_e32 v1, 31, v0
	v_lshlrev_b64 v[0:1], 3, v[0:1]
	v_mov_b32_e32 v2, s23
	v_add_co_u32_e32 v0, vcc, s22, v0
	v_addc_co_u32_e32 v1, vcc, v2, v1, vcc
	v_mov_b32_e32 v4, v3
	global_store_dwordx2 v[0:1], v[4:5], off
.LBB5_58:
	s_endpgm
	.section	.rodata,"a",@progbits
	.p2align	6, 0x0
	.amdhsa_kernel _ZL15flash_attn_tileILi320ELi256ELi1ELi32ELb1EEvPKcS1_S1_S1_S1_PKiPfP15HIP_vector_typeIfLj2EEffffjfiS5_IjLj3EEiiiiiiiiiiiliiliiiiil
		.amdhsa_group_segment_fixed_size 47104
		.amdhsa_private_segment_fixed_size 0
		.amdhsa_kernarg_size 464
		.amdhsa_user_sgpr_count 6
		.amdhsa_user_sgpr_private_segment_buffer 1
		.amdhsa_user_sgpr_dispatch_ptr 0
		.amdhsa_user_sgpr_queue_ptr 0
		.amdhsa_user_sgpr_kernarg_segment_ptr 1
		.amdhsa_user_sgpr_dispatch_id 0
		.amdhsa_user_sgpr_flat_scratch_init 0
		.amdhsa_user_sgpr_kernarg_preload_length 0
		.amdhsa_user_sgpr_kernarg_preload_offset 0
		.amdhsa_user_sgpr_private_segment_size 0
		.amdhsa_uses_dynamic_stack 0
		.amdhsa_system_sgpr_private_segment_wavefront_offset 0
		.amdhsa_system_sgpr_workgroup_id_x 1
		.amdhsa_system_sgpr_workgroup_id_y 1
		.amdhsa_system_sgpr_workgroup_id_z 1
		.amdhsa_system_sgpr_workgroup_info 0
		.amdhsa_system_vgpr_workitem_id 1
		.amdhsa_next_free_vgpr 115
		.amdhsa_next_free_sgpr 40
		.amdhsa_accum_offset 116
		.amdhsa_reserve_vcc 1
		.amdhsa_reserve_flat_scratch 0
		.amdhsa_float_round_mode_32 0
		.amdhsa_float_round_mode_16_64 0
		.amdhsa_float_denorm_mode_32 3
		.amdhsa_float_denorm_mode_16_64 3
		.amdhsa_dx10_clamp 1
		.amdhsa_ieee_mode 1
		.amdhsa_fp16_overflow 0
		.amdhsa_tg_split 0
		.amdhsa_exception_fp_ieee_invalid_op 0
		.amdhsa_exception_fp_denorm_src 0
		.amdhsa_exception_fp_ieee_div_zero 0
		.amdhsa_exception_fp_ieee_overflow 0
		.amdhsa_exception_fp_ieee_underflow 0
		.amdhsa_exception_fp_ieee_inexact 0
		.amdhsa_exception_int_div_zero 0
	.end_amdhsa_kernel
	.section	.text._ZL15flash_attn_tileILi320ELi256ELi1ELi32ELb1EEvPKcS1_S1_S1_S1_PKiPfP15HIP_vector_typeIfLj2EEffffjfiS5_IjLj3EEiiiiiiiiiiiliiliiiiil,"axG",@progbits,_ZL15flash_attn_tileILi320ELi256ELi1ELi32ELb1EEvPKcS1_S1_S1_S1_PKiPfP15HIP_vector_typeIfLj2EEffffjfiS5_IjLj3EEiiiiiiiiiiiliiliiiiil,comdat
.Lfunc_end5:
	.size	_ZL15flash_attn_tileILi320ELi256ELi1ELi32ELb1EEvPKcS1_S1_S1_S1_PKiPfP15HIP_vector_typeIfLj2EEffffjfiS5_IjLj3EEiiiiiiiiiiiliiliiiiil, .Lfunc_end5-_ZL15flash_attn_tileILi320ELi256ELi1ELi32ELb1EEvPKcS1_S1_S1_S1_PKiPfP15HIP_vector_typeIfLj2EEffffjfiS5_IjLj3EEiiiiiiiiiiiliiliiiiil
                                        ; -- End function
	.section	.AMDGPU.csdata,"",@progbits
; Kernel info:
; codeLenInByte = 29600
; NumSgprs: 44
; NumVgprs: 115
; NumAgprs: 0
; TotalNumVgprs: 115
; ScratchSize: 0
; MemoryBound: 0
; FloatMode: 240
; IeeeMode: 1
; LDSByteSize: 47104 bytes/workgroup (compile time only)
; SGPRBlocks: 5
; VGPRBlocks: 14
; NumSGPRsForWavesPerEU: 44
; NumVGPRsForWavesPerEU: 115
; AccumOffset: 116
; Occupancy: 2
; WaveLimiterHint : 1
; COMPUTE_PGM_RSRC2:SCRATCH_EN: 0
; COMPUTE_PGM_RSRC2:USER_SGPR: 6
; COMPUTE_PGM_RSRC2:TRAP_HANDLER: 0
; COMPUTE_PGM_RSRC2:TGID_X_EN: 1
; COMPUTE_PGM_RSRC2:TGID_Y_EN: 1
; COMPUTE_PGM_RSRC2:TGID_Z_EN: 1
; COMPUTE_PGM_RSRC2:TIDIG_COMP_CNT: 1
; COMPUTE_PGM_RSRC3_GFX90A:ACCUM_OFFSET: 28
; COMPUTE_PGM_RSRC3_GFX90A:TG_SPLIT: 0
	.text
	.p2alignl 6, 3212836864
	.fill 256, 4, 3212836864
	.type	__hip_cuid_17c4405b055e7fda,@object ; @__hip_cuid_17c4405b055e7fda
	.section	.bss,"aw",@nobits
	.globl	__hip_cuid_17c4405b055e7fda
__hip_cuid_17c4405b055e7fda:
	.byte	0                               ; 0x0
	.size	__hip_cuid_17c4405b055e7fda, 1

	.ident	"AMD clang version 19.0.0git (https://github.com/RadeonOpenCompute/llvm-project roc-6.4.0 25133 c7fe45cf4b819c5991fe208aaa96edf142730f1d)"
	.section	".note.GNU-stack","",@progbits
	.addrsig
	.addrsig_sym __hip_cuid_17c4405b055e7fda
	.amdgpu_metadata
---
amdhsa.kernels:
  - .agpr_count:     0
    .args:
      - .address_space:  global
        .offset:         0
        .size:           8
        .value_kind:     global_buffer
      - .address_space:  global
        .offset:         8
        .size:           8
        .value_kind:     global_buffer
      - .address_space:  global
        .offset:         16
        .size:           8
        .value_kind:     global_buffer
      - .address_space:  global
        .offset:         24
        .size:           8
        .value_kind:     global_buffer
      - .address_space:  global
        .offset:         32
        .size:           8
        .value_kind:     global_buffer
      - .address_space:  global
        .offset:         40
        .size:           8
        .value_kind:     global_buffer
      - .address_space:  global
        .offset:         48
        .size:           8
        .value_kind:     global_buffer
      - .address_space:  global
        .offset:         56
        .size:           8
        .value_kind:     global_buffer
      - .offset:         64
        .size:           4
        .value_kind:     by_value
      - .offset:         68
        .size:           4
        .value_kind:     by_value
      - .offset:         72
        .size:           4
        .value_kind:     by_value
      - .offset:         76
        .size:           4
        .value_kind:     by_value
      - .offset:         80
        .size:           4
        .value_kind:     by_value
      - .offset:         84
        .size:           4
        .value_kind:     by_value
      - .offset:         88
        .size:           4
        .value_kind:     by_value
      - .offset:         92
        .size:           12
        .value_kind:     by_value
      - .offset:         104
        .size:           4
        .value_kind:     by_value
      - .offset:         108
        .size:           4
        .value_kind:     by_value
      - .offset:         112
        .size:           4
        .value_kind:     by_value
      - .offset:         116
        .size:           4
        .value_kind:     by_value
      - .offset:         120
        .size:           4
        .value_kind:     by_value
      - .offset:         124
        .size:           4
        .value_kind:     by_value
      - .offset:         128
        .size:           4
        .value_kind:     by_value
      - .offset:         132
        .size:           4
        .value_kind:     by_value
      - .offset:         136
        .size:           4
        .value_kind:     by_value
      - .offset:         140
        .size:           4
        .value_kind:     by_value
      - .offset:         144
        .size:           4
        .value_kind:     by_value
      - .offset:         152
        .size:           8
        .value_kind:     by_value
      - .offset:         160
        .size:           4
        .value_kind:     by_value
      - .offset:         164
        .size:           4
        .value_kind:     by_value
      - .offset:         168
        .size:           8
        .value_kind:     by_value
      - .offset:         176
        .size:           4
        .value_kind:     by_value
      - .offset:         180
        .size:           4
        .value_kind:     by_value
      - .offset:         184
        .size:           4
        .value_kind:     by_value
      - .offset:         188
        .size:           4
        .value_kind:     by_value
      - .offset:         192
        .size:           4
        .value_kind:     by_value
      - .offset:         200
        .size:           8
        .value_kind:     by_value
      - .offset:         208
        .size:           4
        .value_kind:     hidden_block_count_x
      - .offset:         212
        .size:           4
        .value_kind:     hidden_block_count_y
      - .offset:         216
        .size:           4
        .value_kind:     hidden_block_count_z
      - .offset:         220
        .size:           2
        .value_kind:     hidden_group_size_x
      - .offset:         222
        .size:           2
        .value_kind:     hidden_group_size_y
      - .offset:         224
        .size:           2
        .value_kind:     hidden_group_size_z
      - .offset:         226
        .size:           2
        .value_kind:     hidden_remainder_x
      - .offset:         228
        .size:           2
        .value_kind:     hidden_remainder_y
      - .offset:         230
        .size:           2
        .value_kind:     hidden_remainder_z
      - .offset:         248
        .size:           8
        .value_kind:     hidden_global_offset_x
      - .offset:         256
        .size:           8
        .value_kind:     hidden_global_offset_y
      - .offset:         264
        .size:           8
        .value_kind:     hidden_global_offset_z
      - .offset:         272
        .size:           2
        .value_kind:     hidden_grid_dims
    .group_segment_fixed_size: 47104
    .kernarg_segment_align: 8
    .kernarg_segment_size: 464
    .language:       OpenCL C
    .language_version:
      - 2
      - 0
    .max_flat_workgroup_size: 512
    .name:           _ZL15flash_attn_tileILi320ELi256ELi1ELi32ELb0EEvPKcS1_S1_S1_S1_PKiPfP15HIP_vector_typeIfLj2EEffffjfiS5_IjLj3EEiiiiiiiiiiiliiliiiiil
    .private_segment_fixed_size: 0
    .sgpr_count:     51
    .sgpr_spill_count: 0
    .symbol:         _ZL15flash_attn_tileILi320ELi256ELi1ELi32ELb0EEvPKcS1_S1_S1_S1_PKiPfP15HIP_vector_typeIfLj2EEffffjfiS5_IjLj3EEiiiiiiiiiiiliiliiiiil.kd
    .uniform_work_group_size: 1
    .uses_dynamic_stack: false
    .vgpr_count:     236
    .vgpr_spill_count: 0
    .wavefront_size: 64
  - .agpr_count:     0
    .args:
      - .actual_access:  read_only
        .address_space:  global
        .offset:         0
        .size:           8
        .value_kind:     global_buffer
      - .actual_access:  write_only
        .address_space:  global
        .offset:         8
        .size:           8
        .value_kind:     global_buffer
      - .offset:         16
        .size:           4
        .value_kind:     by_value
      - .offset:         20
        .size:           4
        .value_kind:     by_value
      - .offset:         24
        .size:           4
        .value_kind:     by_value
      - .offset:         32
        .size:           4
        .value_kind:     hidden_block_count_x
      - .offset:         36
        .size:           4
        .value_kind:     hidden_block_count_y
      - .offset:         40
        .size:           4
        .value_kind:     hidden_block_count_z
      - .offset:         44
        .size:           2
        .value_kind:     hidden_group_size_x
      - .offset:         46
        .size:           2
        .value_kind:     hidden_group_size_y
      - .offset:         48
        .size:           2
        .value_kind:     hidden_group_size_z
      - .offset:         50
        .size:           2
        .value_kind:     hidden_remainder_x
      - .offset:         52
        .size:           2
        .value_kind:     hidden_remainder_y
      - .offset:         54
        .size:           2
        .value_kind:     hidden_remainder_z
      - .offset:         72
        .size:           8
        .value_kind:     hidden_global_offset_x
      - .offset:         80
        .size:           8
        .value_kind:     hidden_global_offset_y
      - .offset:         88
        .size:           8
        .value_kind:     hidden_global_offset_z
      - .offset:         96
        .size:           2
        .value_kind:     hidden_grid_dims
    .group_segment_fixed_size: 128
    .kernarg_segment_align: 8
    .kernarg_segment_size: 288
    .language:       OpenCL C
    .language_version:
      - 2
      - 0
    .max_flat_workgroup_size: 128
    .name:           _ZL25flash_attn_mask_to_KV_maxILi1EEvPK7__half2Piiii
    .private_segment_fixed_size: 0
    .sgpr_count:     24
    .sgpr_spill_count: 0
    .symbol:         _ZL25flash_attn_mask_to_KV_maxILi1EEvPK7__half2Piiii.kd
    .uniform_work_group_size: 1
    .uses_dynamic_stack: false
    .vgpr_count:     18
    .vgpr_spill_count: 0
    .wavefront_size: 64
  - .agpr_count:     0
    .args:
      - .address_space:  global
        .offset:         0
        .size:           8
        .value_kind:     global_buffer
      - .address_space:  global
        .offset:         8
        .size:           8
        .value_kind:     global_buffer
      - .offset:         16
        .size:           4
        .value_kind:     by_value
      - .offset:         20
        .size:           4
        .value_kind:     by_value
      - .offset:         24
        .size:           4
        .value_kind:     by_value
      - .offset:         28
        .size:           4
        .value_kind:     by_value
      - .offset:         32
        .size:           4
        .value_kind:     by_value
      - .offset:         36
        .size:           4
        .value_kind:     by_value
      - .offset:         40
        .size:           12
        .value_kind:     by_value
      - .offset:         52
        .size:           12
        .value_kind:     by_value
      - .offset:         64
        .size:           12
        .value_kind:     by_value
    .group_segment_fixed_size: 0
    .kernarg_segment_align: 8
    .kernarg_segment_size: 76
    .language:       OpenCL C
    .language_version:
      - 2
      - 0
    .max_flat_workgroup_size: 256
    .name:           _ZL33flash_attn_stream_k_fixup_uniformILi256ELi1ELi32EEvPfPK15HIP_vector_typeIfLj2EEiiiiiiS1_IjLj3EES5_S5_
    .private_segment_fixed_size: 0
    .sgpr_count:     24
    .sgpr_spill_count: 0
    .symbol:         _ZL33flash_attn_stream_k_fixup_uniformILi256ELi1ELi32EEvPfPK15HIP_vector_typeIfLj2EEiiiiiiS1_IjLj3EES5_S5_.kd
    .uniform_work_group_size: 1
    .uses_dynamic_stack: false
    .vgpr_count:     17
    .vgpr_spill_count: 0
    .wavefront_size: 64
  - .agpr_count:     0
    .args:
      - .address_space:  global
        .offset:         0
        .size:           8
        .value_kind:     global_buffer
      - .address_space:  global
        .offset:         8
        .size:           8
        .value_kind:     global_buffer
      - .offset:         16
        .size:           4
        .value_kind:     by_value
      - .offset:         20
        .size:           4
        .value_kind:     by_value
      - .offset:         24
        .size:           4
        .value_kind:     by_value
      - .offset:         28
        .size:           4
        .value_kind:     by_value
      - .offset:         32
        .size:           12
        .value_kind:     by_value
      - .offset:         44
        .size:           12
        .value_kind:     by_value
      - .offset:         56
        .size:           12
        .value_kind:     by_value
      - .offset:         68
        .size:           12
        .value_kind:     by_value
      - .offset:         80
        .size:           4
        .value_kind:     hidden_block_count_x
      - .offset:         84
        .size:           4
        .value_kind:     hidden_block_count_y
      - .offset:         88
        .size:           4
        .value_kind:     hidden_block_count_z
      - .offset:         92
        .size:           2
        .value_kind:     hidden_group_size_x
      - .offset:         94
        .size:           2
        .value_kind:     hidden_group_size_y
      - .offset:         96
        .size:           2
        .value_kind:     hidden_group_size_z
      - .offset:         98
        .size:           2
        .value_kind:     hidden_remainder_x
      - .offset:         100
        .size:           2
        .value_kind:     hidden_remainder_y
      - .offset:         102
        .size:           2
        .value_kind:     hidden_remainder_z
      - .offset:         120
        .size:           8
        .value_kind:     hidden_global_offset_x
      - .offset:         128
        .size:           8
        .value_kind:     hidden_global_offset_y
      - .offset:         136
        .size:           8
        .value_kind:     hidden_global_offset_z
      - .offset:         144
        .size:           2
        .value_kind:     hidden_grid_dims
    .group_segment_fixed_size: 0
    .kernarg_segment_align: 8
    .kernarg_segment_size: 336
    .language:       OpenCL C
    .language_version:
      - 2
      - 0
    .max_flat_workgroup_size: 256
    .name:           _ZL33flash_attn_stream_k_fixup_generalILi256ELi1ELi32EEvPfPK15HIP_vector_typeIfLj2EEiiiiS1_IjLj3EES5_S5_S5_
    .private_segment_fixed_size: 0
    .sgpr_count:     36
    .sgpr_spill_count: 0
    .symbol:         _ZL33flash_attn_stream_k_fixup_generalILi256ELi1ELi32EEvPfPK15HIP_vector_typeIfLj2EEiiiiS1_IjLj3EES5_S5_S5_.kd
    .uniform_work_group_size: 1
    .uses_dynamic_stack: false
    .vgpr_count:     22
    .vgpr_spill_count: 0
    .wavefront_size: 64
  - .agpr_count:     0
    .args:
      - .address_space:  global
        .offset:         0
        .size:           8
        .value_kind:     global_buffer
      - .address_space:  global
        .offset:         8
        .size:           8
        .value_kind:     global_buffer
      - .address_space:  global
        .offset:         16
        .size:           8
        .value_kind:     global_buffer
      - .offset:         24
        .size:           4
        .value_kind:     by_value
      - .offset:         32
        .size:           4
        .value_kind:     hidden_block_count_x
      - .offset:         36
        .size:           4
        .value_kind:     hidden_block_count_y
      - .offset:         40
        .size:           4
        .value_kind:     hidden_block_count_z
      - .offset:         44
        .size:           2
        .value_kind:     hidden_group_size_x
      - .offset:         46
        .size:           2
        .value_kind:     hidden_group_size_y
      - .offset:         48
        .size:           2
        .value_kind:     hidden_group_size_z
      - .offset:         50
        .size:           2
        .value_kind:     hidden_remainder_x
      - .offset:         52
        .size:           2
        .value_kind:     hidden_remainder_y
      - .offset:         54
        .size:           2
        .value_kind:     hidden_remainder_z
      - .offset:         72
        .size:           8
        .value_kind:     hidden_global_offset_x
      - .offset:         80
        .size:           8
        .value_kind:     hidden_global_offset_y
      - .offset:         88
        .size:           8
        .value_kind:     hidden_global_offset_z
      - .offset:         96
        .size:           2
        .value_kind:     hidden_grid_dims
      - .offset:         152
        .size:           4
        .value_kind:     hidden_dynamic_lds_size
    .group_segment_fixed_size: 0
    .kernarg_segment_align: 8
    .kernarg_segment_size: 288
    .language:       OpenCL C
    .language_version:
      - 2
      - 0
    .max_flat_workgroup_size: 256
    .name:           _ZL26flash_attn_combine_resultsILi256EEvPKfPK15HIP_vector_typeIfLj2EEPfi
    .private_segment_fixed_size: 0
    .sgpr_count:     30
    .sgpr_spill_count: 0
    .symbol:         _ZL26flash_attn_combine_resultsILi256EEvPKfPK15HIP_vector_typeIfLj2EEPfi.kd
    .uniform_work_group_size: 1
    .uses_dynamic_stack: false
    .vgpr_count:     51
    .vgpr_spill_count: 0
    .wavefront_size: 64
  - .agpr_count:     0
    .args:
      - .address_space:  global
        .offset:         0
        .size:           8
        .value_kind:     global_buffer
      - .address_space:  global
        .offset:         8
        .size:           8
        .value_kind:     global_buffer
      - .address_space:  global
        .offset:         16
        .size:           8
        .value_kind:     global_buffer
      - .address_space:  global
        .offset:         24
        .size:           8
        .value_kind:     global_buffer
      - .address_space:  global
        .offset:         32
        .size:           8
        .value_kind:     global_buffer
      - .address_space:  global
        .offset:         40
        .size:           8
        .value_kind:     global_buffer
      - .address_space:  global
        .offset:         48
        .size:           8
        .value_kind:     global_buffer
      - .address_space:  global
        .offset:         56
        .size:           8
        .value_kind:     global_buffer
      - .offset:         64
        .size:           4
        .value_kind:     by_value
      - .offset:         68
        .size:           4
        .value_kind:     by_value
      - .offset:         72
        .size:           4
        .value_kind:     by_value
      - .offset:         76
        .size:           4
        .value_kind:     by_value
      - .offset:         80
        .size:           4
        .value_kind:     by_value
      - .offset:         84
        .size:           4
        .value_kind:     by_value
      - .offset:         88
        .size:           4
        .value_kind:     by_value
      - .offset:         92
        .size:           12
        .value_kind:     by_value
      - .offset:         104
        .size:           4
        .value_kind:     by_value
      - .offset:         108
        .size:           4
        .value_kind:     by_value
      - .offset:         112
        .size:           4
        .value_kind:     by_value
      - .offset:         116
        .size:           4
        .value_kind:     by_value
      - .offset:         120
        .size:           4
        .value_kind:     by_value
      - .offset:         124
        .size:           4
        .value_kind:     by_value
      - .offset:         128
        .size:           4
        .value_kind:     by_value
      - .offset:         132
        .size:           4
        .value_kind:     by_value
      - .offset:         136
        .size:           4
        .value_kind:     by_value
      - .offset:         140
        .size:           4
        .value_kind:     by_value
      - .offset:         144
        .size:           4
        .value_kind:     by_value
      - .offset:         152
        .size:           8
        .value_kind:     by_value
      - .offset:         160
        .size:           4
        .value_kind:     by_value
      - .offset:         164
        .size:           4
        .value_kind:     by_value
      - .offset:         168
        .size:           8
        .value_kind:     by_value
      - .offset:         176
        .size:           4
        .value_kind:     by_value
      - .offset:         180
        .size:           4
        .value_kind:     by_value
      - .offset:         184
        .size:           4
        .value_kind:     by_value
      - .offset:         188
        .size:           4
        .value_kind:     by_value
      - .offset:         192
        .size:           4
        .value_kind:     by_value
      - .offset:         200
        .size:           8
        .value_kind:     by_value
      - .offset:         208
        .size:           4
        .value_kind:     hidden_block_count_x
      - .offset:         212
        .size:           4
        .value_kind:     hidden_block_count_y
      - .offset:         216
        .size:           4
        .value_kind:     hidden_block_count_z
      - .offset:         220
        .size:           2
        .value_kind:     hidden_group_size_x
      - .offset:         222
        .size:           2
        .value_kind:     hidden_group_size_y
      - .offset:         224
        .size:           2
        .value_kind:     hidden_group_size_z
      - .offset:         226
        .size:           2
        .value_kind:     hidden_remainder_x
      - .offset:         228
        .size:           2
        .value_kind:     hidden_remainder_y
      - .offset:         230
        .size:           2
        .value_kind:     hidden_remainder_z
      - .offset:         248
        .size:           8
        .value_kind:     hidden_global_offset_x
      - .offset:         256
        .size:           8
        .value_kind:     hidden_global_offset_y
      - .offset:         264
        .size:           8
        .value_kind:     hidden_global_offset_z
      - .offset:         272
        .size:           2
        .value_kind:     hidden_grid_dims
    .group_segment_fixed_size: 47104
    .kernarg_segment_align: 8
    .kernarg_segment_size: 464
    .language:       OpenCL C
    .language_version:
      - 2
      - 0
    .max_flat_workgroup_size: 512
    .name:           _ZL15flash_attn_tileILi320ELi256ELi1ELi32ELb1EEvPKcS1_S1_S1_S1_PKiPfP15HIP_vector_typeIfLj2EEffffjfiS5_IjLj3EEiiiiiiiiiiiliiliiiiil
    .private_segment_fixed_size: 0
    .sgpr_count:     44
    .sgpr_spill_count: 0
    .symbol:         _ZL15flash_attn_tileILi320ELi256ELi1ELi32ELb1EEvPKcS1_S1_S1_S1_PKiPfP15HIP_vector_typeIfLj2EEffffjfiS5_IjLj3EEiiiiiiiiiiiliiliiiiil.kd
    .uniform_work_group_size: 1
    .uses_dynamic_stack: false
    .vgpr_count:     115
    .vgpr_spill_count: 0
    .wavefront_size: 64
amdhsa.target:   amdgcn-amd-amdhsa--gfx90a
amdhsa.version:
  - 1
  - 2
...

	.end_amdgpu_metadata
